;; amdgpu-corpus repo=ROCm/rocPRIM kind=compiled arch=gfx90a opt=O3
	.text
	.amdgcn_target "amdgcn-amd-amdhsa--gfx90a"
	.amdhsa_code_object_version 6
	.section	.text._Z20warp_exchange_kernelILj256ELj1ELj16EN6common18BlockedToStripedOpEiEvPT3_j,"axG",@progbits,_Z20warp_exchange_kernelILj256ELj1ELj16EN6common18BlockedToStripedOpEiEvPT3_j,comdat
	.protected	_Z20warp_exchange_kernelILj256ELj1ELj16EN6common18BlockedToStripedOpEiEvPT3_j ; -- Begin function _Z20warp_exchange_kernelILj256ELj1ELj16EN6common18BlockedToStripedOpEiEvPT3_j
	.globl	_Z20warp_exchange_kernelILj256ELj1ELj16EN6common18BlockedToStripedOpEiEvPT3_j
	.p2align	8
	.type	_Z20warp_exchange_kernelILj256ELj1ELj16EN6common18BlockedToStripedOpEiEvPT3_j,@function
_Z20warp_exchange_kernelILj256ELj1ELj16EN6common18BlockedToStripedOpEiEvPT3_j: ; @_Z20warp_exchange_kernelILj256ELj1ELj16EN6common18BlockedToStripedOpEiEvPT3_j
; %bb.0:
	s_load_dword s0, s[4:5], 0x8
	s_waitcnt lgkmcnt(0)
	s_cmp_eq_u32 s0, 0
	s_cbranch_scc1 .LBB0_3
; %bb.1:
	v_mbcnt_lo_u32_b32 v2, -1, 0
	v_mbcnt_hi_u32_b32 v2, -1, v2
	v_and_b32_e32 v2, 15, v2
	v_lshlrev_b32_e32 v1, 2, v0
	v_lshlrev_b32_e32 v2, 2, v2
	s_movk_i32 s1, 0x3c0
	v_and_or_b32 v2, v1, s1, v2
	v_mov_b32_e32 v1, v0
.LBB0_2:                                ; =>This Inner Loop Header: Depth=1
	s_waitcnt lgkmcnt(0)
	ds_write_b32 v2, v1
	; wave barrier
	ds_read_b32 v1, v2
	s_add_i32 s0, s0, -1
	s_cmp_lg_u32 s0, 0
	; wave barrier
	s_cbranch_scc1 .LBB0_2
	s_branch .LBB0_4
.LBB0_3:
	v_mov_b32_e32 v1, v0
.LBB0_4:
	s_load_dwordx2 s[0:1], s[4:5], 0x0
	v_lshl_or_b32 v2, s6, 8, v0
	v_mov_b32_e32 v3, 0
	v_lshlrev_b64 v[2:3], 2, v[2:3]
	s_waitcnt lgkmcnt(0)
	v_mov_b32_e32 v0, s1
	v_add_co_u32_e32 v2, vcc, s0, v2
	v_addc_co_u32_e32 v3, vcc, v0, v3, vcc
	global_store_dword v[2:3], v1, off
	s_endpgm
	.section	.rodata,"a",@progbits
	.p2align	6, 0x0
	.amdhsa_kernel _Z20warp_exchange_kernelILj256ELj1ELj16EN6common18BlockedToStripedOpEiEvPT3_j
		.amdhsa_group_segment_fixed_size 1024
		.amdhsa_private_segment_fixed_size 0
		.amdhsa_kernarg_size 12
		.amdhsa_user_sgpr_count 6
		.amdhsa_user_sgpr_private_segment_buffer 1
		.amdhsa_user_sgpr_dispatch_ptr 0
		.amdhsa_user_sgpr_queue_ptr 0
		.amdhsa_user_sgpr_kernarg_segment_ptr 1
		.amdhsa_user_sgpr_dispatch_id 0
		.amdhsa_user_sgpr_flat_scratch_init 0
		.amdhsa_user_sgpr_kernarg_preload_length 0
		.amdhsa_user_sgpr_kernarg_preload_offset 0
		.amdhsa_user_sgpr_private_segment_size 0
		.amdhsa_uses_dynamic_stack 0
		.amdhsa_system_sgpr_private_segment_wavefront_offset 0
		.amdhsa_system_sgpr_workgroup_id_x 1
		.amdhsa_system_sgpr_workgroup_id_y 0
		.amdhsa_system_sgpr_workgroup_id_z 0
		.amdhsa_system_sgpr_workgroup_info 0
		.amdhsa_system_vgpr_workitem_id 0
		.amdhsa_next_free_vgpr 4
		.amdhsa_next_free_sgpr 7
		.amdhsa_accum_offset 4
		.amdhsa_reserve_vcc 1
		.amdhsa_reserve_flat_scratch 0
		.amdhsa_float_round_mode_32 0
		.amdhsa_float_round_mode_16_64 0
		.amdhsa_float_denorm_mode_32 3
		.amdhsa_float_denorm_mode_16_64 3
		.amdhsa_dx10_clamp 1
		.amdhsa_ieee_mode 1
		.amdhsa_fp16_overflow 0
		.amdhsa_tg_split 0
		.amdhsa_exception_fp_ieee_invalid_op 0
		.amdhsa_exception_fp_denorm_src 0
		.amdhsa_exception_fp_ieee_div_zero 0
		.amdhsa_exception_fp_ieee_overflow 0
		.amdhsa_exception_fp_ieee_underflow 0
		.amdhsa_exception_fp_ieee_inexact 0
		.amdhsa_exception_int_div_zero 0
	.end_amdhsa_kernel
	.section	.text._Z20warp_exchange_kernelILj256ELj1ELj16EN6common18BlockedToStripedOpEiEvPT3_j,"axG",@progbits,_Z20warp_exchange_kernelILj256ELj1ELj16EN6common18BlockedToStripedOpEiEvPT3_j,comdat
.Lfunc_end0:
	.size	_Z20warp_exchange_kernelILj256ELj1ELj16EN6common18BlockedToStripedOpEiEvPT3_j, .Lfunc_end0-_Z20warp_exchange_kernelILj256ELj1ELj16EN6common18BlockedToStripedOpEiEvPT3_j
                                        ; -- End function
	.section	.AMDGPU.csdata,"",@progbits
; Kernel info:
; codeLenInByte = 160
; NumSgprs: 11
; NumVgprs: 4
; NumAgprs: 0
; TotalNumVgprs: 4
; ScratchSize: 0
; MemoryBound: 0
; FloatMode: 240
; IeeeMode: 1
; LDSByteSize: 1024 bytes/workgroup (compile time only)
; SGPRBlocks: 1
; VGPRBlocks: 0
; NumSGPRsForWavesPerEU: 11
; NumVGPRsForWavesPerEU: 4
; AccumOffset: 4
; Occupancy: 8
; WaveLimiterHint : 0
; COMPUTE_PGM_RSRC2:SCRATCH_EN: 0
; COMPUTE_PGM_RSRC2:USER_SGPR: 6
; COMPUTE_PGM_RSRC2:TRAP_HANDLER: 0
; COMPUTE_PGM_RSRC2:TGID_X_EN: 1
; COMPUTE_PGM_RSRC2:TGID_Y_EN: 0
; COMPUTE_PGM_RSRC2:TGID_Z_EN: 0
; COMPUTE_PGM_RSRC2:TIDIG_COMP_CNT: 0
; COMPUTE_PGM_RSRC3_GFX90A:ACCUM_OFFSET: 0
; COMPUTE_PGM_RSRC3_GFX90A:TG_SPLIT: 0
	.section	.text._Z20warp_exchange_kernelILj256ELj1ELj32EN6common18BlockedToStripedOpEiEvPT3_j,"axG",@progbits,_Z20warp_exchange_kernelILj256ELj1ELj32EN6common18BlockedToStripedOpEiEvPT3_j,comdat
	.protected	_Z20warp_exchange_kernelILj256ELj1ELj32EN6common18BlockedToStripedOpEiEvPT3_j ; -- Begin function _Z20warp_exchange_kernelILj256ELj1ELj32EN6common18BlockedToStripedOpEiEvPT3_j
	.globl	_Z20warp_exchange_kernelILj256ELj1ELj32EN6common18BlockedToStripedOpEiEvPT3_j
	.p2align	8
	.type	_Z20warp_exchange_kernelILj256ELj1ELj32EN6common18BlockedToStripedOpEiEvPT3_j,@function
_Z20warp_exchange_kernelILj256ELj1ELj32EN6common18BlockedToStripedOpEiEvPT3_j: ; @_Z20warp_exchange_kernelILj256ELj1ELj32EN6common18BlockedToStripedOpEiEvPT3_j
; %bb.0:
	s_load_dword s0, s[4:5], 0x8
	s_waitcnt lgkmcnt(0)
	s_cmp_eq_u32 s0, 0
	s_cbranch_scc1 .LBB1_3
; %bb.1:
	v_mbcnt_lo_u32_b32 v2, -1, 0
	v_mbcnt_hi_u32_b32 v2, -1, v2
	v_and_b32_e32 v2, 31, v2
	v_lshlrev_b32_e32 v1, 2, v0
	v_lshlrev_b32_e32 v2, 2, v2
	s_movk_i32 s1, 0x380
	v_and_or_b32 v2, v1, s1, v2
	v_mov_b32_e32 v1, v0
.LBB1_2:                                ; =>This Inner Loop Header: Depth=1
	s_waitcnt lgkmcnt(0)
	ds_write_b32 v2, v1
	; wave barrier
	ds_read_b32 v1, v2
	s_add_i32 s0, s0, -1
	s_cmp_lg_u32 s0, 0
	; wave barrier
	s_cbranch_scc1 .LBB1_2
	s_branch .LBB1_4
.LBB1_3:
	v_mov_b32_e32 v1, v0
.LBB1_4:
	s_load_dwordx2 s[0:1], s[4:5], 0x0
	v_lshl_or_b32 v2, s6, 8, v0
	v_mov_b32_e32 v3, 0
	v_lshlrev_b64 v[2:3], 2, v[2:3]
	s_waitcnt lgkmcnt(0)
	v_mov_b32_e32 v0, s1
	v_add_co_u32_e32 v2, vcc, s0, v2
	v_addc_co_u32_e32 v3, vcc, v0, v3, vcc
	global_store_dword v[2:3], v1, off
	s_endpgm
	.section	.rodata,"a",@progbits
	.p2align	6, 0x0
	.amdhsa_kernel _Z20warp_exchange_kernelILj256ELj1ELj32EN6common18BlockedToStripedOpEiEvPT3_j
		.amdhsa_group_segment_fixed_size 1024
		.amdhsa_private_segment_fixed_size 0
		.amdhsa_kernarg_size 12
		.amdhsa_user_sgpr_count 6
		.amdhsa_user_sgpr_private_segment_buffer 1
		.amdhsa_user_sgpr_dispatch_ptr 0
		.amdhsa_user_sgpr_queue_ptr 0
		.amdhsa_user_sgpr_kernarg_segment_ptr 1
		.amdhsa_user_sgpr_dispatch_id 0
		.amdhsa_user_sgpr_flat_scratch_init 0
		.amdhsa_user_sgpr_kernarg_preload_length 0
		.amdhsa_user_sgpr_kernarg_preload_offset 0
		.amdhsa_user_sgpr_private_segment_size 0
		.amdhsa_uses_dynamic_stack 0
		.amdhsa_system_sgpr_private_segment_wavefront_offset 0
		.amdhsa_system_sgpr_workgroup_id_x 1
		.amdhsa_system_sgpr_workgroup_id_y 0
		.amdhsa_system_sgpr_workgroup_id_z 0
		.amdhsa_system_sgpr_workgroup_info 0
		.amdhsa_system_vgpr_workitem_id 0
		.amdhsa_next_free_vgpr 4
		.amdhsa_next_free_sgpr 7
		.amdhsa_accum_offset 4
		.amdhsa_reserve_vcc 1
		.amdhsa_reserve_flat_scratch 0
		.amdhsa_float_round_mode_32 0
		.amdhsa_float_round_mode_16_64 0
		.amdhsa_float_denorm_mode_32 3
		.amdhsa_float_denorm_mode_16_64 3
		.amdhsa_dx10_clamp 1
		.amdhsa_ieee_mode 1
		.amdhsa_fp16_overflow 0
		.amdhsa_tg_split 0
		.amdhsa_exception_fp_ieee_invalid_op 0
		.amdhsa_exception_fp_denorm_src 0
		.amdhsa_exception_fp_ieee_div_zero 0
		.amdhsa_exception_fp_ieee_overflow 0
		.amdhsa_exception_fp_ieee_underflow 0
		.amdhsa_exception_fp_ieee_inexact 0
		.amdhsa_exception_int_div_zero 0
	.end_amdhsa_kernel
	.section	.text._Z20warp_exchange_kernelILj256ELj1ELj32EN6common18BlockedToStripedOpEiEvPT3_j,"axG",@progbits,_Z20warp_exchange_kernelILj256ELj1ELj32EN6common18BlockedToStripedOpEiEvPT3_j,comdat
.Lfunc_end1:
	.size	_Z20warp_exchange_kernelILj256ELj1ELj32EN6common18BlockedToStripedOpEiEvPT3_j, .Lfunc_end1-_Z20warp_exchange_kernelILj256ELj1ELj32EN6common18BlockedToStripedOpEiEvPT3_j
                                        ; -- End function
	.section	.AMDGPU.csdata,"",@progbits
; Kernel info:
; codeLenInByte = 160
; NumSgprs: 11
; NumVgprs: 4
; NumAgprs: 0
; TotalNumVgprs: 4
; ScratchSize: 0
; MemoryBound: 0
; FloatMode: 240
; IeeeMode: 1
; LDSByteSize: 1024 bytes/workgroup (compile time only)
; SGPRBlocks: 1
; VGPRBlocks: 0
; NumSGPRsForWavesPerEU: 11
; NumVGPRsForWavesPerEU: 4
; AccumOffset: 4
; Occupancy: 8
; WaveLimiterHint : 0
; COMPUTE_PGM_RSRC2:SCRATCH_EN: 0
; COMPUTE_PGM_RSRC2:USER_SGPR: 6
; COMPUTE_PGM_RSRC2:TRAP_HANDLER: 0
; COMPUTE_PGM_RSRC2:TGID_X_EN: 1
; COMPUTE_PGM_RSRC2:TGID_Y_EN: 0
; COMPUTE_PGM_RSRC2:TGID_Z_EN: 0
; COMPUTE_PGM_RSRC2:TIDIG_COMP_CNT: 0
; COMPUTE_PGM_RSRC3_GFX90A:ACCUM_OFFSET: 0
; COMPUTE_PGM_RSRC3_GFX90A:TG_SPLIT: 0
	.section	.text._Z20warp_exchange_kernelILj256ELj4ELj16EN6common18BlockedToStripedOpEiEvPT3_j,"axG",@progbits,_Z20warp_exchange_kernelILj256ELj4ELj16EN6common18BlockedToStripedOpEiEvPT3_j,comdat
	.protected	_Z20warp_exchange_kernelILj256ELj4ELj16EN6common18BlockedToStripedOpEiEvPT3_j ; -- Begin function _Z20warp_exchange_kernelILj256ELj4ELj16EN6common18BlockedToStripedOpEiEvPT3_j
	.globl	_Z20warp_exchange_kernelILj256ELj4ELj16EN6common18BlockedToStripedOpEiEvPT3_j
	.p2align	8
	.type	_Z20warp_exchange_kernelILj256ELj4ELj16EN6common18BlockedToStripedOpEiEvPT3_j,@function
_Z20warp_exchange_kernelILj256ELj4ELj16EN6common18BlockedToStripedOpEiEvPT3_j: ; @_Z20warp_exchange_kernelILj256ELj4ELj16EN6common18BlockedToStripedOpEiEvPT3_j
; %bb.0:
	s_load_dword s0, s[4:5], 0x8
	v_lshlrev_b32_e32 v4, 2, v0
	v_or_b32_e32 v1, 1, v4
	v_or_b32_e32 v2, 2, v4
	;; [unrolled: 1-line block ×3, first 2 shown]
	s_waitcnt lgkmcnt(0)
	s_cmp_eq_u32 s0, 0
	s_cbranch_scc1 .LBB2_3
; %bb.1:
	v_mbcnt_lo_u32_b32 v5, -1, 0
	v_mbcnt_hi_u32_b32 v5, -1, v5
	v_and_b32_e32 v6, 15, v5
	v_lshlrev_b32_e32 v0, 4, v0
	v_lshlrev_b32_e32 v5, 4, v6
	s_movk_i32 s1, 0xf00
	v_and_or_b32 v5, v0, s1, v5
	v_mul_i32_i24_e32 v0, -12, v6
	v_add_u32_e32 v6, v5, v0
	v_mov_b32_e32 v0, v4
.LBB2_2:                                ; =>This Inner Loop Header: Depth=1
	s_waitcnt lgkmcnt(0)
	ds_write_b128 v5, v[0:3]
	; wave barrier
	ds_read2_b32 v[0:1], v6 offset1:16
	ds_read2_b32 v[2:3], v6 offset0:32 offset1:48
	s_add_i32 s0, s0, -1
	s_cmp_lg_u32 s0, 0
	; wave barrier
	s_cbranch_scc1 .LBB2_2
	s_branch .LBB2_4
.LBB2_3:
	v_mov_b32_e32 v5, v1
	v_mov_b32_e32 v6, v2
	;; [unrolled: 1-line block ×3, first 2 shown]
	v_pk_mov_b32 v[0:1], v[4:5], v[4:5] op_sel:[0,1]
	v_pk_mov_b32 v[2:3], v[6:7], v[6:7] op_sel:[0,1]
.LBB2_4:
	s_load_dwordx2 s[0:1], s[4:5], 0x0
	v_lshl_or_b32 v4, s6, 10, v4
	v_mov_b32_e32 v5, 0
	v_lshlrev_b64 v[4:5], 2, v[4:5]
	s_waitcnt lgkmcnt(0)
	v_mov_b32_e32 v6, s1
	v_add_co_u32_e32 v4, vcc, s0, v4
	v_addc_co_u32_e32 v5, vcc, v6, v5, vcc
	global_store_dwordx4 v[4:5], v[0:3], off
	s_endpgm
	.section	.rodata,"a",@progbits
	.p2align	6, 0x0
	.amdhsa_kernel _Z20warp_exchange_kernelILj256ELj4ELj16EN6common18BlockedToStripedOpEiEvPT3_j
		.amdhsa_group_segment_fixed_size 4096
		.amdhsa_private_segment_fixed_size 0
		.amdhsa_kernarg_size 12
		.amdhsa_user_sgpr_count 6
		.amdhsa_user_sgpr_private_segment_buffer 1
		.amdhsa_user_sgpr_dispatch_ptr 0
		.amdhsa_user_sgpr_queue_ptr 0
		.amdhsa_user_sgpr_kernarg_segment_ptr 1
		.amdhsa_user_sgpr_dispatch_id 0
		.amdhsa_user_sgpr_flat_scratch_init 0
		.amdhsa_user_sgpr_kernarg_preload_length 0
		.amdhsa_user_sgpr_kernarg_preload_offset 0
		.amdhsa_user_sgpr_private_segment_size 0
		.amdhsa_uses_dynamic_stack 0
		.amdhsa_system_sgpr_private_segment_wavefront_offset 0
		.amdhsa_system_sgpr_workgroup_id_x 1
		.amdhsa_system_sgpr_workgroup_id_y 0
		.amdhsa_system_sgpr_workgroup_id_z 0
		.amdhsa_system_sgpr_workgroup_info 0
		.amdhsa_system_vgpr_workitem_id 0
		.amdhsa_next_free_vgpr 8
		.amdhsa_next_free_sgpr 7
		.amdhsa_accum_offset 8
		.amdhsa_reserve_vcc 1
		.amdhsa_reserve_flat_scratch 0
		.amdhsa_float_round_mode_32 0
		.amdhsa_float_round_mode_16_64 0
		.amdhsa_float_denorm_mode_32 3
		.amdhsa_float_denorm_mode_16_64 3
		.amdhsa_dx10_clamp 1
		.amdhsa_ieee_mode 1
		.amdhsa_fp16_overflow 0
		.amdhsa_tg_split 0
		.amdhsa_exception_fp_ieee_invalid_op 0
		.amdhsa_exception_fp_denorm_src 0
		.amdhsa_exception_fp_ieee_div_zero 0
		.amdhsa_exception_fp_ieee_overflow 0
		.amdhsa_exception_fp_ieee_underflow 0
		.amdhsa_exception_fp_ieee_inexact 0
		.amdhsa_exception_int_div_zero 0
	.end_amdhsa_kernel
	.section	.text._Z20warp_exchange_kernelILj256ELj4ELj16EN6common18BlockedToStripedOpEiEvPT3_j,"axG",@progbits,_Z20warp_exchange_kernelILj256ELj4ELj16EN6common18BlockedToStripedOpEiEvPT3_j,comdat
.Lfunc_end2:
	.size	_Z20warp_exchange_kernelILj256ELj4ELj16EN6common18BlockedToStripedOpEiEvPT3_j, .Lfunc_end2-_Z20warp_exchange_kernelILj256ELj4ELj16EN6common18BlockedToStripedOpEiEvPT3_j
                                        ; -- End function
	.section	.AMDGPU.csdata,"",@progbits
; Kernel info:
; codeLenInByte = 216
; NumSgprs: 11
; NumVgprs: 8
; NumAgprs: 0
; TotalNumVgprs: 8
; ScratchSize: 0
; MemoryBound: 0
; FloatMode: 240
; IeeeMode: 1
; LDSByteSize: 4096 bytes/workgroup (compile time only)
; SGPRBlocks: 1
; VGPRBlocks: 0
; NumSGPRsForWavesPerEU: 11
; NumVGPRsForWavesPerEU: 8
; AccumOffset: 8
; Occupancy: 8
; WaveLimiterHint : 0
; COMPUTE_PGM_RSRC2:SCRATCH_EN: 0
; COMPUTE_PGM_RSRC2:USER_SGPR: 6
; COMPUTE_PGM_RSRC2:TRAP_HANDLER: 0
; COMPUTE_PGM_RSRC2:TGID_X_EN: 1
; COMPUTE_PGM_RSRC2:TGID_Y_EN: 0
; COMPUTE_PGM_RSRC2:TGID_Z_EN: 0
; COMPUTE_PGM_RSRC2:TIDIG_COMP_CNT: 0
; COMPUTE_PGM_RSRC3_GFX90A:ACCUM_OFFSET: 1
; COMPUTE_PGM_RSRC3_GFX90A:TG_SPLIT: 0
	.section	.text._Z20warp_exchange_kernelILj256ELj4ELj32EN6common18BlockedToStripedOpEiEvPT3_j,"axG",@progbits,_Z20warp_exchange_kernelILj256ELj4ELj32EN6common18BlockedToStripedOpEiEvPT3_j,comdat
	.protected	_Z20warp_exchange_kernelILj256ELj4ELj32EN6common18BlockedToStripedOpEiEvPT3_j ; -- Begin function _Z20warp_exchange_kernelILj256ELj4ELj32EN6common18BlockedToStripedOpEiEvPT3_j
	.globl	_Z20warp_exchange_kernelILj256ELj4ELj32EN6common18BlockedToStripedOpEiEvPT3_j
	.p2align	8
	.type	_Z20warp_exchange_kernelILj256ELj4ELj32EN6common18BlockedToStripedOpEiEvPT3_j,@function
_Z20warp_exchange_kernelILj256ELj4ELj32EN6common18BlockedToStripedOpEiEvPT3_j: ; @_Z20warp_exchange_kernelILj256ELj4ELj32EN6common18BlockedToStripedOpEiEvPT3_j
; %bb.0:
	s_load_dword s0, s[4:5], 0x8
	v_lshlrev_b32_e32 v4, 2, v0
	v_or_b32_e32 v1, 1, v4
	v_or_b32_e32 v2, 2, v4
	v_or_b32_e32 v3, 3, v4
	s_waitcnt lgkmcnt(0)
	s_cmp_eq_u32 s0, 0
	s_cbranch_scc1 .LBB3_3
; %bb.1:
	v_mbcnt_lo_u32_b32 v5, -1, 0
	v_mbcnt_hi_u32_b32 v5, -1, v5
	v_and_b32_e32 v6, 31, v5
	v_lshlrev_b32_e32 v0, 4, v0
	v_lshlrev_b32_e32 v5, 4, v6
	s_movk_i32 s1, 0xe00
	v_and_or_b32 v5, v0, s1, v5
	v_mul_i32_i24_e32 v0, -12, v6
	v_add_u32_e32 v6, v5, v0
	v_mov_b32_e32 v0, v4
.LBB3_2:                                ; =>This Inner Loop Header: Depth=1
	s_waitcnt lgkmcnt(0)
	ds_write_b128 v5, v[0:3]
	; wave barrier
	ds_read2_b32 v[0:1], v6 offset1:32
	ds_read2_b32 v[2:3], v6 offset0:64 offset1:96
	s_add_i32 s0, s0, -1
	s_cmp_lg_u32 s0, 0
	; wave barrier
	s_cbranch_scc1 .LBB3_2
	s_branch .LBB3_4
.LBB3_3:
	v_mov_b32_e32 v5, v1
	v_mov_b32_e32 v6, v2
	;; [unrolled: 1-line block ×3, first 2 shown]
	v_pk_mov_b32 v[0:1], v[4:5], v[4:5] op_sel:[0,1]
	v_pk_mov_b32 v[2:3], v[6:7], v[6:7] op_sel:[0,1]
.LBB3_4:
	s_load_dwordx2 s[0:1], s[4:5], 0x0
	v_lshl_or_b32 v4, s6, 10, v4
	v_mov_b32_e32 v5, 0
	v_lshlrev_b64 v[4:5], 2, v[4:5]
	s_waitcnt lgkmcnt(0)
	v_mov_b32_e32 v6, s1
	v_add_co_u32_e32 v4, vcc, s0, v4
	v_addc_co_u32_e32 v5, vcc, v6, v5, vcc
	global_store_dwordx4 v[4:5], v[0:3], off
	s_endpgm
	.section	.rodata,"a",@progbits
	.p2align	6, 0x0
	.amdhsa_kernel _Z20warp_exchange_kernelILj256ELj4ELj32EN6common18BlockedToStripedOpEiEvPT3_j
		.amdhsa_group_segment_fixed_size 4096
		.amdhsa_private_segment_fixed_size 0
		.amdhsa_kernarg_size 12
		.amdhsa_user_sgpr_count 6
		.amdhsa_user_sgpr_private_segment_buffer 1
		.amdhsa_user_sgpr_dispatch_ptr 0
		.amdhsa_user_sgpr_queue_ptr 0
		.amdhsa_user_sgpr_kernarg_segment_ptr 1
		.amdhsa_user_sgpr_dispatch_id 0
		.amdhsa_user_sgpr_flat_scratch_init 0
		.amdhsa_user_sgpr_kernarg_preload_length 0
		.amdhsa_user_sgpr_kernarg_preload_offset 0
		.amdhsa_user_sgpr_private_segment_size 0
		.amdhsa_uses_dynamic_stack 0
		.amdhsa_system_sgpr_private_segment_wavefront_offset 0
		.amdhsa_system_sgpr_workgroup_id_x 1
		.amdhsa_system_sgpr_workgroup_id_y 0
		.amdhsa_system_sgpr_workgroup_id_z 0
		.amdhsa_system_sgpr_workgroup_info 0
		.amdhsa_system_vgpr_workitem_id 0
		.amdhsa_next_free_vgpr 8
		.amdhsa_next_free_sgpr 7
		.amdhsa_accum_offset 8
		.amdhsa_reserve_vcc 1
		.amdhsa_reserve_flat_scratch 0
		.amdhsa_float_round_mode_32 0
		.amdhsa_float_round_mode_16_64 0
		.amdhsa_float_denorm_mode_32 3
		.amdhsa_float_denorm_mode_16_64 3
		.amdhsa_dx10_clamp 1
		.amdhsa_ieee_mode 1
		.amdhsa_fp16_overflow 0
		.amdhsa_tg_split 0
		.amdhsa_exception_fp_ieee_invalid_op 0
		.amdhsa_exception_fp_denorm_src 0
		.amdhsa_exception_fp_ieee_div_zero 0
		.amdhsa_exception_fp_ieee_overflow 0
		.amdhsa_exception_fp_ieee_underflow 0
		.amdhsa_exception_fp_ieee_inexact 0
		.amdhsa_exception_int_div_zero 0
	.end_amdhsa_kernel
	.section	.text._Z20warp_exchange_kernelILj256ELj4ELj32EN6common18BlockedToStripedOpEiEvPT3_j,"axG",@progbits,_Z20warp_exchange_kernelILj256ELj4ELj32EN6common18BlockedToStripedOpEiEvPT3_j,comdat
.Lfunc_end3:
	.size	_Z20warp_exchange_kernelILj256ELj4ELj32EN6common18BlockedToStripedOpEiEvPT3_j, .Lfunc_end3-_Z20warp_exchange_kernelILj256ELj4ELj32EN6common18BlockedToStripedOpEiEvPT3_j
                                        ; -- End function
	.section	.AMDGPU.csdata,"",@progbits
; Kernel info:
; codeLenInByte = 216
; NumSgprs: 11
; NumVgprs: 8
; NumAgprs: 0
; TotalNumVgprs: 8
; ScratchSize: 0
; MemoryBound: 0
; FloatMode: 240
; IeeeMode: 1
; LDSByteSize: 4096 bytes/workgroup (compile time only)
; SGPRBlocks: 1
; VGPRBlocks: 0
; NumSGPRsForWavesPerEU: 11
; NumVGPRsForWavesPerEU: 8
; AccumOffset: 8
; Occupancy: 8
; WaveLimiterHint : 0
; COMPUTE_PGM_RSRC2:SCRATCH_EN: 0
; COMPUTE_PGM_RSRC2:USER_SGPR: 6
; COMPUTE_PGM_RSRC2:TRAP_HANDLER: 0
; COMPUTE_PGM_RSRC2:TGID_X_EN: 1
; COMPUTE_PGM_RSRC2:TGID_Y_EN: 0
; COMPUTE_PGM_RSRC2:TGID_Z_EN: 0
; COMPUTE_PGM_RSRC2:TIDIG_COMP_CNT: 0
; COMPUTE_PGM_RSRC3_GFX90A:ACCUM_OFFSET: 1
; COMPUTE_PGM_RSRC3_GFX90A:TG_SPLIT: 0
	.section	.text._Z20warp_exchange_kernelILj256ELj16ELj16EN6common18BlockedToStripedOpEiEvPT3_j,"axG",@progbits,_Z20warp_exchange_kernelILj256ELj16ELj16EN6common18BlockedToStripedOpEiEvPT3_j,comdat
	.protected	_Z20warp_exchange_kernelILj256ELj16ELj16EN6common18BlockedToStripedOpEiEvPT3_j ; -- Begin function _Z20warp_exchange_kernelILj256ELj16ELj16EN6common18BlockedToStripedOpEiEvPT3_j
	.globl	_Z20warp_exchange_kernelILj256ELj16ELj16EN6common18BlockedToStripedOpEiEvPT3_j
	.p2align	8
	.type	_Z20warp_exchange_kernelILj256ELj16ELj16EN6common18BlockedToStripedOpEiEvPT3_j,@function
_Z20warp_exchange_kernelILj256ELj16ELj16EN6common18BlockedToStripedOpEiEvPT3_j: ; @_Z20warp_exchange_kernelILj256ELj16ELj16EN6common18BlockedToStripedOpEiEvPT3_j
; %bb.0:
	s_load_dword s0, s[4:5], 0x8
	v_lshlrev_b32_e32 v16, 4, v0
	v_or_b32_e32 v17, 1, v16
	v_or_b32_e32 v18, 2, v16
	;; [unrolled: 1-line block ×14, first 2 shown]
	s_waitcnt lgkmcnt(0)
	s_cmp_lg_u32 s0, 0
	v_or_b32_e32 v31, 15, v16
	s_cbranch_scc0 .LBB4_6
; %bb.1:
	v_mbcnt_lo_u32_b32 v1, -1, 0
	v_mbcnt_hi_u32_b32 v1, -1, v1
	v_and_b32_e32 v1, 15, v1
	v_lshlrev_b32_e32 v0, 6, v0
	v_lshlrev_b32_e32 v2, 6, v1
	s_movk_i32 s1, 0x3c00
	v_and_or_b32 v32, v0, s1, v2
	v_mul_i32_i24_e32 v0, 0xffffffc4, v1
	v_add_u32_e32 v33, v32, v0
	v_mov_b32_e32 v8, v16
	v_mov_b32_e32 v9, v17
	;; [unrolled: 1-line block ×16, first 2 shown]
.LBB4_2:                                ; =>This Inner Loop Header: Depth=1
	s_waitcnt lgkmcnt(6)
	ds_write_b128 v32, v[8:11]
	s_waitcnt lgkmcnt(5)
	ds_write_b128 v32, v[12:15] offset:16
	s_waitcnt lgkmcnt(4)
	ds_write_b128 v32, v[4:7] offset:32
	;; [unrolled: 2-line block ×3, first 2 shown]
	; wave barrier
	ds_read2_b32 v[8:9], v33 offset1:16
	ds_read2_b32 v[10:11], v33 offset0:32 offset1:48
	ds_read2_b32 v[12:13], v33 offset0:64 offset1:80
	;; [unrolled: 1-line block ×7, first 2 shown]
	s_add_i32 s0, s0, -1
	s_cmp_lg_u32 s0, 0
	; wave barrier
	s_cbranch_scc1 .LBB4_2
; %bb.3:
	s_branch .LBB4_5
.LBB4_4:
	s_waitcnt lgkmcnt(6)
	v_pk_mov_b32 v[10:11], v[18:19], v[18:19] op_sel:[0,1]
	s_waitcnt lgkmcnt(5)
	v_pk_mov_b32 v[12:13], v[20:21], v[20:21] op_sel:[0,1]
	s_waitcnt lgkmcnt(4)
	v_pk_mov_b32 v[14:15], v[22:23], v[22:23] op_sel:[0,1]
	s_waitcnt lgkmcnt(3)
	v_pk_mov_b32 v[4:5], v[24:25], v[24:25] op_sel:[0,1]
	s_waitcnt lgkmcnt(2)
	v_pk_mov_b32 v[6:7], v[26:27], v[26:27] op_sel:[0,1]
	s_waitcnt lgkmcnt(1)
	v_pk_mov_b32 v[0:1], v[28:29], v[28:29] op_sel:[0,1]
	s_waitcnt lgkmcnt(0)
	v_pk_mov_b32 v[2:3], v[30:31], v[30:31] op_sel:[0,1]
	v_pk_mov_b32 v[8:9], v[16:17], v[16:17] op_sel:[0,1]
.LBB4_5:
	s_load_dwordx2 s[0:1], s[4:5], 0x0
	v_lshl_or_b32 v16, s6, 12, v16
	v_mov_b32_e32 v17, 0
	v_lshlrev_b64 v[16:17], 2, v[16:17]
	s_waitcnt lgkmcnt(0)
	v_mov_b32_e32 v18, s1
	v_add_co_u32_e32 v16, vcc, s0, v16
	v_addc_co_u32_e32 v17, vcc, v18, v17, vcc
	global_store_dwordx4 v[16:17], v[8:11], off
	global_store_dwordx4 v[16:17], v[12:15], off offset:16
	global_store_dwordx4 v[16:17], v[4:7], off offset:32
	;; [unrolled: 1-line block ×3, first 2 shown]
	s_endpgm
.LBB4_6:
                                        ; implicit-def: $vgpr8_vgpr9
                                        ; implicit-def: $vgpr2_vgpr3
                                        ; implicit-def: $vgpr6_vgpr7
                                        ; implicit-def: $vgpr14_vgpr15
	s_cbranch_execnz .LBB4_4
	s_branch .LBB4_5
	.section	.rodata,"a",@progbits
	.p2align	6, 0x0
	.amdhsa_kernel _Z20warp_exchange_kernelILj256ELj16ELj16EN6common18BlockedToStripedOpEiEvPT3_j
		.amdhsa_group_segment_fixed_size 16384
		.amdhsa_private_segment_fixed_size 0
		.amdhsa_kernarg_size 12
		.amdhsa_user_sgpr_count 6
		.amdhsa_user_sgpr_private_segment_buffer 1
		.amdhsa_user_sgpr_dispatch_ptr 0
		.amdhsa_user_sgpr_queue_ptr 0
		.amdhsa_user_sgpr_kernarg_segment_ptr 1
		.amdhsa_user_sgpr_dispatch_id 0
		.amdhsa_user_sgpr_flat_scratch_init 0
		.amdhsa_user_sgpr_kernarg_preload_length 0
		.amdhsa_user_sgpr_kernarg_preload_offset 0
		.amdhsa_user_sgpr_private_segment_size 0
		.amdhsa_uses_dynamic_stack 0
		.amdhsa_system_sgpr_private_segment_wavefront_offset 0
		.amdhsa_system_sgpr_workgroup_id_x 1
		.amdhsa_system_sgpr_workgroup_id_y 0
		.amdhsa_system_sgpr_workgroup_id_z 0
		.amdhsa_system_sgpr_workgroup_info 0
		.amdhsa_system_vgpr_workitem_id 0
		.amdhsa_next_free_vgpr 34
		.amdhsa_next_free_sgpr 7
		.amdhsa_accum_offset 36
		.amdhsa_reserve_vcc 1
		.amdhsa_reserve_flat_scratch 0
		.amdhsa_float_round_mode_32 0
		.amdhsa_float_round_mode_16_64 0
		.amdhsa_float_denorm_mode_32 3
		.amdhsa_float_denorm_mode_16_64 3
		.amdhsa_dx10_clamp 1
		.amdhsa_ieee_mode 1
		.amdhsa_fp16_overflow 0
		.amdhsa_tg_split 0
		.amdhsa_exception_fp_ieee_invalid_op 0
		.amdhsa_exception_fp_denorm_src 0
		.amdhsa_exception_fp_ieee_div_zero 0
		.amdhsa_exception_fp_ieee_overflow 0
		.amdhsa_exception_fp_ieee_underflow 0
		.amdhsa_exception_fp_ieee_inexact 0
		.amdhsa_exception_int_div_zero 0
	.end_amdhsa_kernel
	.section	.text._Z20warp_exchange_kernelILj256ELj16ELj16EN6common18BlockedToStripedOpEiEvPT3_j,"axG",@progbits,_Z20warp_exchange_kernelILj256ELj16ELj16EN6common18BlockedToStripedOpEiEvPT3_j,comdat
.Lfunc_end4:
	.size	_Z20warp_exchange_kernelILj256ELj16ELj16EN6common18BlockedToStripedOpEiEvPT3_j, .Lfunc_end4-_Z20warp_exchange_kernelILj256ELj16ELj16EN6common18BlockedToStripedOpEiEvPT3_j
                                        ; -- End function
	.section	.AMDGPU.csdata,"",@progbits
; Kernel info:
; codeLenInByte = 508
; NumSgprs: 11
; NumVgprs: 34
; NumAgprs: 0
; TotalNumVgprs: 34
; ScratchSize: 0
; MemoryBound: 0
; FloatMode: 240
; IeeeMode: 1
; LDSByteSize: 16384 bytes/workgroup (compile time only)
; SGPRBlocks: 1
; VGPRBlocks: 4
; NumSGPRsForWavesPerEU: 11
; NumVGPRsForWavesPerEU: 34
; AccumOffset: 36
; Occupancy: 4
; WaveLimiterHint : 0
; COMPUTE_PGM_RSRC2:SCRATCH_EN: 0
; COMPUTE_PGM_RSRC2:USER_SGPR: 6
; COMPUTE_PGM_RSRC2:TRAP_HANDLER: 0
; COMPUTE_PGM_RSRC2:TGID_X_EN: 1
; COMPUTE_PGM_RSRC2:TGID_Y_EN: 0
; COMPUTE_PGM_RSRC2:TGID_Z_EN: 0
; COMPUTE_PGM_RSRC2:TIDIG_COMP_CNT: 0
; COMPUTE_PGM_RSRC3_GFX90A:ACCUM_OFFSET: 8
; COMPUTE_PGM_RSRC3_GFX90A:TG_SPLIT: 0
	.section	.text._Z20warp_exchange_kernelILj256ELj16ELj32EN6common18BlockedToStripedOpEiEvPT3_j,"axG",@progbits,_Z20warp_exchange_kernelILj256ELj16ELj32EN6common18BlockedToStripedOpEiEvPT3_j,comdat
	.protected	_Z20warp_exchange_kernelILj256ELj16ELj32EN6common18BlockedToStripedOpEiEvPT3_j ; -- Begin function _Z20warp_exchange_kernelILj256ELj16ELj32EN6common18BlockedToStripedOpEiEvPT3_j
	.globl	_Z20warp_exchange_kernelILj256ELj16ELj32EN6common18BlockedToStripedOpEiEvPT3_j
	.p2align	8
	.type	_Z20warp_exchange_kernelILj256ELj16ELj32EN6common18BlockedToStripedOpEiEvPT3_j,@function
_Z20warp_exchange_kernelILj256ELj16ELj32EN6common18BlockedToStripedOpEiEvPT3_j: ; @_Z20warp_exchange_kernelILj256ELj16ELj32EN6common18BlockedToStripedOpEiEvPT3_j
; %bb.0:
	s_load_dword s0, s[4:5], 0x8
	v_lshlrev_b32_e32 v16, 4, v0
	v_or_b32_e32 v17, 1, v16
	v_or_b32_e32 v18, 2, v16
	;; [unrolled: 1-line block ×14, first 2 shown]
	s_waitcnt lgkmcnt(0)
	s_cmp_lg_u32 s0, 0
	v_or_b32_e32 v31, 15, v16
	s_cbranch_scc0 .LBB5_6
; %bb.1:
	v_mbcnt_lo_u32_b32 v1, -1, 0
	v_mbcnt_hi_u32_b32 v1, -1, v1
	v_and_b32_e32 v1, 31, v1
	v_lshlrev_b32_e32 v0, 6, v0
	v_lshlrev_b32_e32 v2, 6, v1
	s_movk_i32 s1, 0x3800
	v_and_or_b32 v32, v0, s1, v2
	v_mul_i32_i24_e32 v0, 0xffffffc4, v1
	v_add_u32_e32 v33, v32, v0
	v_add_u32_e32 v34, 0x400, v33
	v_mov_b32_e32 v8, v16
	v_mov_b32_e32 v9, v17
	;; [unrolled: 1-line block ×16, first 2 shown]
.LBB5_2:                                ; =>This Inner Loop Header: Depth=1
	s_waitcnt lgkmcnt(6)
	ds_write_b128 v32, v[8:11]
	s_waitcnt lgkmcnt(5)
	ds_write_b128 v32, v[12:15] offset:16
	s_waitcnt lgkmcnt(4)
	ds_write_b128 v32, v[4:7] offset:32
	s_waitcnt lgkmcnt(3)
	ds_write_b128 v32, v[0:3] offset:48
	; wave barrier
	ds_read2_b32 v[8:9], v33 offset1:32
	ds_read2_b32 v[10:11], v33 offset0:64 offset1:96
	ds_read2_b32 v[12:13], v33 offset0:128 offset1:160
	;; [unrolled: 1-line block ×3, first 2 shown]
	ds_read2_b32 v[4:5], v34 offset1:32
	ds_read2_b32 v[6:7], v34 offset0:64 offset1:96
	ds_read2_b32 v[0:1], v34 offset0:128 offset1:160
	;; [unrolled: 1-line block ×3, first 2 shown]
	s_add_i32 s0, s0, -1
	s_cmp_lg_u32 s0, 0
	; wave barrier
	s_cbranch_scc1 .LBB5_2
; %bb.3:
	s_branch .LBB5_5
.LBB5_4:
	s_waitcnt lgkmcnt(6)
	v_pk_mov_b32 v[10:11], v[18:19], v[18:19] op_sel:[0,1]
	s_waitcnt lgkmcnt(5)
	v_pk_mov_b32 v[12:13], v[20:21], v[20:21] op_sel:[0,1]
	;; [unrolled: 2-line block ×7, first 2 shown]
	v_pk_mov_b32 v[8:9], v[16:17], v[16:17] op_sel:[0,1]
.LBB5_5:
	s_load_dwordx2 s[0:1], s[4:5], 0x0
	v_lshl_or_b32 v16, s6, 12, v16
	v_mov_b32_e32 v17, 0
	v_lshlrev_b64 v[16:17], 2, v[16:17]
	s_waitcnt lgkmcnt(0)
	v_mov_b32_e32 v18, s1
	v_add_co_u32_e32 v16, vcc, s0, v16
	v_addc_co_u32_e32 v17, vcc, v18, v17, vcc
	global_store_dwordx4 v[16:17], v[8:11], off
	global_store_dwordx4 v[16:17], v[12:15], off offset:16
	global_store_dwordx4 v[16:17], v[4:7], off offset:32
	;; [unrolled: 1-line block ×3, first 2 shown]
	s_endpgm
.LBB5_6:
                                        ; implicit-def: $vgpr8_vgpr9
                                        ; implicit-def: $vgpr2_vgpr3
                                        ; implicit-def: $vgpr6_vgpr7
                                        ; implicit-def: $vgpr14_vgpr15
	s_cbranch_execnz .LBB5_4
	s_branch .LBB5_5
	.section	.rodata,"a",@progbits
	.p2align	6, 0x0
	.amdhsa_kernel _Z20warp_exchange_kernelILj256ELj16ELj32EN6common18BlockedToStripedOpEiEvPT3_j
		.amdhsa_group_segment_fixed_size 16384
		.amdhsa_private_segment_fixed_size 0
		.amdhsa_kernarg_size 12
		.amdhsa_user_sgpr_count 6
		.amdhsa_user_sgpr_private_segment_buffer 1
		.amdhsa_user_sgpr_dispatch_ptr 0
		.amdhsa_user_sgpr_queue_ptr 0
		.amdhsa_user_sgpr_kernarg_segment_ptr 1
		.amdhsa_user_sgpr_dispatch_id 0
		.amdhsa_user_sgpr_flat_scratch_init 0
		.amdhsa_user_sgpr_kernarg_preload_length 0
		.amdhsa_user_sgpr_kernarg_preload_offset 0
		.amdhsa_user_sgpr_private_segment_size 0
		.amdhsa_uses_dynamic_stack 0
		.amdhsa_system_sgpr_private_segment_wavefront_offset 0
		.amdhsa_system_sgpr_workgroup_id_x 1
		.amdhsa_system_sgpr_workgroup_id_y 0
		.amdhsa_system_sgpr_workgroup_id_z 0
		.amdhsa_system_sgpr_workgroup_info 0
		.amdhsa_system_vgpr_workitem_id 0
		.amdhsa_next_free_vgpr 35
		.amdhsa_next_free_sgpr 7
		.amdhsa_accum_offset 36
		.amdhsa_reserve_vcc 1
		.amdhsa_reserve_flat_scratch 0
		.amdhsa_float_round_mode_32 0
		.amdhsa_float_round_mode_16_64 0
		.amdhsa_float_denorm_mode_32 3
		.amdhsa_float_denorm_mode_16_64 3
		.amdhsa_dx10_clamp 1
		.amdhsa_ieee_mode 1
		.amdhsa_fp16_overflow 0
		.amdhsa_tg_split 0
		.amdhsa_exception_fp_ieee_invalid_op 0
		.amdhsa_exception_fp_denorm_src 0
		.amdhsa_exception_fp_ieee_div_zero 0
		.amdhsa_exception_fp_ieee_overflow 0
		.amdhsa_exception_fp_ieee_underflow 0
		.amdhsa_exception_fp_ieee_inexact 0
		.amdhsa_exception_int_div_zero 0
	.end_amdhsa_kernel
	.section	.text._Z20warp_exchange_kernelILj256ELj16ELj32EN6common18BlockedToStripedOpEiEvPT3_j,"axG",@progbits,_Z20warp_exchange_kernelILj256ELj16ELj32EN6common18BlockedToStripedOpEiEvPT3_j,comdat
.Lfunc_end5:
	.size	_Z20warp_exchange_kernelILj256ELj16ELj32EN6common18BlockedToStripedOpEiEvPT3_j, .Lfunc_end5-_Z20warp_exchange_kernelILj256ELj16ELj32EN6common18BlockedToStripedOpEiEvPT3_j
                                        ; -- End function
	.section	.AMDGPU.csdata,"",@progbits
; Kernel info:
; codeLenInByte = 516
; NumSgprs: 11
; NumVgprs: 35
; NumAgprs: 0
; TotalNumVgprs: 35
; ScratchSize: 0
; MemoryBound: 0
; FloatMode: 240
; IeeeMode: 1
; LDSByteSize: 16384 bytes/workgroup (compile time only)
; SGPRBlocks: 1
; VGPRBlocks: 4
; NumSGPRsForWavesPerEU: 11
; NumVGPRsForWavesPerEU: 35
; AccumOffset: 36
; Occupancy: 4
; WaveLimiterHint : 0
; COMPUTE_PGM_RSRC2:SCRATCH_EN: 0
; COMPUTE_PGM_RSRC2:USER_SGPR: 6
; COMPUTE_PGM_RSRC2:TRAP_HANDLER: 0
; COMPUTE_PGM_RSRC2:TGID_X_EN: 1
; COMPUTE_PGM_RSRC2:TGID_Y_EN: 0
; COMPUTE_PGM_RSRC2:TGID_Z_EN: 0
; COMPUTE_PGM_RSRC2:TIDIG_COMP_CNT: 0
; COMPUTE_PGM_RSRC3_GFX90A:ACCUM_OFFSET: 8
; COMPUTE_PGM_RSRC3_GFX90A:TG_SPLIT: 0
	.section	.text._Z20warp_exchange_kernelILj256ELj32ELj32EN6common18BlockedToStripedOpEiEvPT3_j,"axG",@progbits,_Z20warp_exchange_kernelILj256ELj32ELj32EN6common18BlockedToStripedOpEiEvPT3_j,comdat
	.protected	_Z20warp_exchange_kernelILj256ELj32ELj32EN6common18BlockedToStripedOpEiEvPT3_j ; -- Begin function _Z20warp_exchange_kernelILj256ELj32ELj32EN6common18BlockedToStripedOpEiEvPT3_j
	.globl	_Z20warp_exchange_kernelILj256ELj32ELj32EN6common18BlockedToStripedOpEiEvPT3_j
	.p2align	8
	.type	_Z20warp_exchange_kernelILj256ELj32ELj32EN6common18BlockedToStripedOpEiEvPT3_j,@function
_Z20warp_exchange_kernelILj256ELj32ELj32EN6common18BlockedToStripedOpEiEvPT3_j: ; @_Z20warp_exchange_kernelILj256ELj32ELj32EN6common18BlockedToStripedOpEiEvPT3_j
; %bb.0:
	s_load_dword s0, s[4:5], 0x8
	v_lshlrev_b32_e32 v32, 5, v0
	v_or_b32_e32 v33, 1, v32
	v_or_b32_e32 v34, 2, v32
	;; [unrolled: 1-line block ×30, first 2 shown]
	s_waitcnt lgkmcnt(0)
	s_cmp_lg_u32 s0, 0
	v_or_b32_e32 v63, 31, v32
	s_cbranch_scc0 .LBB6_6
; %bb.1:
	v_mbcnt_lo_u32_b32 v1, -1, 0
	v_mbcnt_hi_u32_b32 v1, -1, v1
	v_and_b32_e32 v1, 31, v1
	v_lshlrev_b32_e32 v0, 7, v0
	v_lshlrev_b32_e32 v2, 7, v1
	s_movk_i32 s1, 0x7000
	v_and_or_b32 v64, v0, s1, v2
	v_mul_i32_i24_e32 v0, 0xffffff84, v1
	v_add_u32_e32 v65, v64, v0
	v_add_u32_e32 v66, 0x400, v65
	v_add_u32_e32 v67, 0x800, v65
	v_add_u32_e32 v68, 0xc00, v65
	v_mov_b32_e32 v16, v32
	v_mov_b32_e32 v17, v33
	;; [unrolled: 1-line block ×32, first 2 shown]
.LBB6_2:                                ; =>This Inner Loop Header: Depth=1
	s_waitcnt lgkmcnt(14)
	ds_write_b128 v64, v[16:19]
	s_waitcnt lgkmcnt(13)
	ds_write_b128 v64, v[28:31] offset:16
	s_waitcnt lgkmcnt(12)
	ds_write_b128 v64, v[24:27] offset:32
	;; [unrolled: 2-line block ×7, first 2 shown]
	; wave barrier
	ds_read2_b32 v[16:17], v65 offset1:32
	ds_read2_b32 v[18:19], v65 offset0:64 offset1:96
	ds_read2_b32 v[28:29], v65 offset0:128 offset1:160
	ds_read2_b32 v[30:31], v65 offset0:192 offset1:224
	ds_read2_b32 v[24:25], v66 offset1:32
	ds_read2_b32 v[26:27], v66 offset0:64 offset1:96
	ds_read2_b32 v[20:21], v66 offset0:128 offset1:160
	ds_read2_b32 v[22:23], v66 offset0:192 offset1:224
	;; [unrolled: 4-line block ×4, first 2 shown]
	s_add_i32 s0, s0, -1
	s_cmp_lg_u32 s0, 0
	; wave barrier
	s_cbranch_scc1 .LBB6_2
; %bb.3:
	s_branch .LBB6_5
.LBB6_4:
	s_waitcnt lgkmcnt(14)
	v_pk_mov_b32 v[18:19], v[34:35], v[34:35] op_sel:[0,1]
	s_waitcnt lgkmcnt(13)
	v_pk_mov_b32 v[28:29], v[36:37], v[36:37] op_sel:[0,1]
	;; [unrolled: 2-line block ×15, first 2 shown]
	v_pk_mov_b32 v[16:17], v[32:33], v[32:33] op_sel:[0,1]
.LBB6_5:
	s_load_dwordx2 s[0:1], s[4:5], 0x0
	v_lshl_or_b32 v32, s6, 13, v32
	v_mov_b32_e32 v33, 0
	v_lshlrev_b64 v[32:33], 2, v[32:33]
	s_waitcnt lgkmcnt(0)
	v_mov_b32_e32 v34, s1
	v_add_co_u32_e32 v32, vcc, s0, v32
	v_addc_co_u32_e32 v33, vcc, v34, v33, vcc
	global_store_dwordx4 v[32:33], v[16:19], off
	global_store_dwordx4 v[32:33], v[28:31], off offset:16
	global_store_dwordx4 v[32:33], v[24:27], off offset:32
	;; [unrolled: 1-line block ×7, first 2 shown]
	s_endpgm
.LBB6_6:
                                        ; implicit-def: $vgpr16_vgpr17
                                        ; implicit-def: $vgpr2_vgpr3
                                        ; implicit-def: $vgpr6_vgpr7
                                        ; implicit-def: $vgpr10_vgpr11
                                        ; implicit-def: $vgpr14_vgpr15
                                        ; implicit-def: $vgpr22_vgpr23
                                        ; implicit-def: $vgpr26_vgpr27
                                        ; implicit-def: $vgpr30_vgpr31
	s_cbranch_execnz .LBB6_4
	s_branch .LBB6_5
	.section	.rodata,"a",@progbits
	.p2align	6, 0x0
	.amdhsa_kernel _Z20warp_exchange_kernelILj256ELj32ELj32EN6common18BlockedToStripedOpEiEvPT3_j
		.amdhsa_group_segment_fixed_size 32768
		.amdhsa_private_segment_fixed_size 0
		.amdhsa_kernarg_size 12
		.amdhsa_user_sgpr_count 6
		.amdhsa_user_sgpr_private_segment_buffer 1
		.amdhsa_user_sgpr_dispatch_ptr 0
		.amdhsa_user_sgpr_queue_ptr 0
		.amdhsa_user_sgpr_kernarg_segment_ptr 1
		.amdhsa_user_sgpr_dispatch_id 0
		.amdhsa_user_sgpr_flat_scratch_init 0
		.amdhsa_user_sgpr_kernarg_preload_length 0
		.amdhsa_user_sgpr_kernarg_preload_offset 0
		.amdhsa_user_sgpr_private_segment_size 0
		.amdhsa_uses_dynamic_stack 0
		.amdhsa_system_sgpr_private_segment_wavefront_offset 0
		.amdhsa_system_sgpr_workgroup_id_x 1
		.amdhsa_system_sgpr_workgroup_id_y 0
		.amdhsa_system_sgpr_workgroup_id_z 0
		.amdhsa_system_sgpr_workgroup_info 0
		.amdhsa_system_vgpr_workitem_id 0
		.amdhsa_next_free_vgpr 69
		.amdhsa_next_free_sgpr 7
		.amdhsa_accum_offset 72
		.amdhsa_reserve_vcc 1
		.amdhsa_reserve_flat_scratch 0
		.amdhsa_float_round_mode_32 0
		.amdhsa_float_round_mode_16_64 0
		.amdhsa_float_denorm_mode_32 3
		.amdhsa_float_denorm_mode_16_64 3
		.amdhsa_dx10_clamp 1
		.amdhsa_ieee_mode 1
		.amdhsa_fp16_overflow 0
		.amdhsa_tg_split 0
		.amdhsa_exception_fp_ieee_invalid_op 0
		.amdhsa_exception_fp_denorm_src 0
		.amdhsa_exception_fp_ieee_div_zero 0
		.amdhsa_exception_fp_ieee_overflow 0
		.amdhsa_exception_fp_ieee_underflow 0
		.amdhsa_exception_fp_ieee_inexact 0
		.amdhsa_exception_int_div_zero 0
	.end_amdhsa_kernel
	.section	.text._Z20warp_exchange_kernelILj256ELj32ELj32EN6common18BlockedToStripedOpEiEvPT3_j,"axG",@progbits,_Z20warp_exchange_kernelILj256ELj32ELj32EN6common18BlockedToStripedOpEiEvPT3_j,comdat
.Lfunc_end6:
	.size	_Z20warp_exchange_kernelILj256ELj32ELj32EN6common18BlockedToStripedOpEiEvPT3_j, .Lfunc_end6-_Z20warp_exchange_kernelILj256ELj32ELj32EN6common18BlockedToStripedOpEiEvPT3_j
                                        ; -- End function
	.section	.AMDGPU.csdata,"",@progbits
; Kernel info:
; codeLenInByte = 900
; NumSgprs: 11
; NumVgprs: 69
; NumAgprs: 0
; TotalNumVgprs: 69
; ScratchSize: 0
; MemoryBound: 0
; FloatMode: 240
; IeeeMode: 1
; LDSByteSize: 32768 bytes/workgroup (compile time only)
; SGPRBlocks: 1
; VGPRBlocks: 8
; NumSGPRsForWavesPerEU: 11
; NumVGPRsForWavesPerEU: 69
; AccumOffset: 72
; Occupancy: 2
; WaveLimiterHint : 0
; COMPUTE_PGM_RSRC2:SCRATCH_EN: 0
; COMPUTE_PGM_RSRC2:USER_SGPR: 6
; COMPUTE_PGM_RSRC2:TRAP_HANDLER: 0
; COMPUTE_PGM_RSRC2:TGID_X_EN: 1
; COMPUTE_PGM_RSRC2:TGID_Y_EN: 0
; COMPUTE_PGM_RSRC2:TGID_Z_EN: 0
; COMPUTE_PGM_RSRC2:TIDIG_COMP_CNT: 0
; COMPUTE_PGM_RSRC3_GFX90A:ACCUM_OFFSET: 17
; COMPUTE_PGM_RSRC3_GFX90A:TG_SPLIT: 0
	.section	.text._Z20warp_exchange_kernelILj256ELj1ELj16EN6common18StripedToBlockedOpEiEvPT3_j,"axG",@progbits,_Z20warp_exchange_kernelILj256ELj1ELj16EN6common18StripedToBlockedOpEiEvPT3_j,comdat
	.protected	_Z20warp_exchange_kernelILj256ELj1ELj16EN6common18StripedToBlockedOpEiEvPT3_j ; -- Begin function _Z20warp_exchange_kernelILj256ELj1ELj16EN6common18StripedToBlockedOpEiEvPT3_j
	.globl	_Z20warp_exchange_kernelILj256ELj1ELj16EN6common18StripedToBlockedOpEiEvPT3_j
	.p2align	8
	.type	_Z20warp_exchange_kernelILj256ELj1ELj16EN6common18StripedToBlockedOpEiEvPT3_j,@function
_Z20warp_exchange_kernelILj256ELj1ELj16EN6common18StripedToBlockedOpEiEvPT3_j: ; @_Z20warp_exchange_kernelILj256ELj1ELj16EN6common18StripedToBlockedOpEiEvPT3_j
; %bb.0:
	s_load_dword s0, s[4:5], 0x8
	s_waitcnt lgkmcnt(0)
	s_cmp_eq_u32 s0, 0
	s_cbranch_scc1 .LBB7_3
; %bb.1:
	v_mbcnt_lo_u32_b32 v2, -1, 0
	v_mbcnt_hi_u32_b32 v2, -1, v2
	v_and_b32_e32 v2, 15, v2
	v_lshlrev_b32_e32 v1, 2, v0
	v_lshlrev_b32_e32 v2, 2, v2
	s_movk_i32 s1, 0x3c0
	v_and_or_b32 v2, v1, s1, v2
	v_mov_b32_e32 v1, v0
.LBB7_2:                                ; =>This Inner Loop Header: Depth=1
	s_waitcnt lgkmcnt(0)
	ds_write_b32 v2, v1
	; wave barrier
	ds_read_b32 v1, v2
	s_add_i32 s0, s0, -1
	s_cmp_lg_u32 s0, 0
	; wave barrier
	s_cbranch_scc1 .LBB7_2
	s_branch .LBB7_4
.LBB7_3:
	v_mov_b32_e32 v1, v0
.LBB7_4:
	s_load_dwordx2 s[0:1], s[4:5], 0x0
	v_lshl_or_b32 v2, s6, 8, v0
	v_mov_b32_e32 v3, 0
	v_lshlrev_b64 v[2:3], 2, v[2:3]
	s_waitcnt lgkmcnt(0)
	v_mov_b32_e32 v0, s1
	v_add_co_u32_e32 v2, vcc, s0, v2
	v_addc_co_u32_e32 v3, vcc, v0, v3, vcc
	global_store_dword v[2:3], v1, off
	s_endpgm
	.section	.rodata,"a",@progbits
	.p2align	6, 0x0
	.amdhsa_kernel _Z20warp_exchange_kernelILj256ELj1ELj16EN6common18StripedToBlockedOpEiEvPT3_j
		.amdhsa_group_segment_fixed_size 1024
		.amdhsa_private_segment_fixed_size 0
		.amdhsa_kernarg_size 12
		.amdhsa_user_sgpr_count 6
		.amdhsa_user_sgpr_private_segment_buffer 1
		.amdhsa_user_sgpr_dispatch_ptr 0
		.amdhsa_user_sgpr_queue_ptr 0
		.amdhsa_user_sgpr_kernarg_segment_ptr 1
		.amdhsa_user_sgpr_dispatch_id 0
		.amdhsa_user_sgpr_flat_scratch_init 0
		.amdhsa_user_sgpr_kernarg_preload_length 0
		.amdhsa_user_sgpr_kernarg_preload_offset 0
		.amdhsa_user_sgpr_private_segment_size 0
		.amdhsa_uses_dynamic_stack 0
		.amdhsa_system_sgpr_private_segment_wavefront_offset 0
		.amdhsa_system_sgpr_workgroup_id_x 1
		.amdhsa_system_sgpr_workgroup_id_y 0
		.amdhsa_system_sgpr_workgroup_id_z 0
		.amdhsa_system_sgpr_workgroup_info 0
		.amdhsa_system_vgpr_workitem_id 0
		.amdhsa_next_free_vgpr 4
		.amdhsa_next_free_sgpr 7
		.amdhsa_accum_offset 4
		.amdhsa_reserve_vcc 1
		.amdhsa_reserve_flat_scratch 0
		.amdhsa_float_round_mode_32 0
		.amdhsa_float_round_mode_16_64 0
		.amdhsa_float_denorm_mode_32 3
		.amdhsa_float_denorm_mode_16_64 3
		.amdhsa_dx10_clamp 1
		.amdhsa_ieee_mode 1
		.amdhsa_fp16_overflow 0
		.amdhsa_tg_split 0
		.amdhsa_exception_fp_ieee_invalid_op 0
		.amdhsa_exception_fp_denorm_src 0
		.amdhsa_exception_fp_ieee_div_zero 0
		.amdhsa_exception_fp_ieee_overflow 0
		.amdhsa_exception_fp_ieee_underflow 0
		.amdhsa_exception_fp_ieee_inexact 0
		.amdhsa_exception_int_div_zero 0
	.end_amdhsa_kernel
	.section	.text._Z20warp_exchange_kernelILj256ELj1ELj16EN6common18StripedToBlockedOpEiEvPT3_j,"axG",@progbits,_Z20warp_exchange_kernelILj256ELj1ELj16EN6common18StripedToBlockedOpEiEvPT3_j,comdat
.Lfunc_end7:
	.size	_Z20warp_exchange_kernelILj256ELj1ELj16EN6common18StripedToBlockedOpEiEvPT3_j, .Lfunc_end7-_Z20warp_exchange_kernelILj256ELj1ELj16EN6common18StripedToBlockedOpEiEvPT3_j
                                        ; -- End function
	.section	.AMDGPU.csdata,"",@progbits
; Kernel info:
; codeLenInByte = 160
; NumSgprs: 11
; NumVgprs: 4
; NumAgprs: 0
; TotalNumVgprs: 4
; ScratchSize: 0
; MemoryBound: 0
; FloatMode: 240
; IeeeMode: 1
; LDSByteSize: 1024 bytes/workgroup (compile time only)
; SGPRBlocks: 1
; VGPRBlocks: 0
; NumSGPRsForWavesPerEU: 11
; NumVGPRsForWavesPerEU: 4
; AccumOffset: 4
; Occupancy: 8
; WaveLimiterHint : 0
; COMPUTE_PGM_RSRC2:SCRATCH_EN: 0
; COMPUTE_PGM_RSRC2:USER_SGPR: 6
; COMPUTE_PGM_RSRC2:TRAP_HANDLER: 0
; COMPUTE_PGM_RSRC2:TGID_X_EN: 1
; COMPUTE_PGM_RSRC2:TGID_Y_EN: 0
; COMPUTE_PGM_RSRC2:TGID_Z_EN: 0
; COMPUTE_PGM_RSRC2:TIDIG_COMP_CNT: 0
; COMPUTE_PGM_RSRC3_GFX90A:ACCUM_OFFSET: 0
; COMPUTE_PGM_RSRC3_GFX90A:TG_SPLIT: 0
	.section	.text._Z20warp_exchange_kernelILj256ELj1ELj32EN6common18StripedToBlockedOpEiEvPT3_j,"axG",@progbits,_Z20warp_exchange_kernelILj256ELj1ELj32EN6common18StripedToBlockedOpEiEvPT3_j,comdat
	.protected	_Z20warp_exchange_kernelILj256ELj1ELj32EN6common18StripedToBlockedOpEiEvPT3_j ; -- Begin function _Z20warp_exchange_kernelILj256ELj1ELj32EN6common18StripedToBlockedOpEiEvPT3_j
	.globl	_Z20warp_exchange_kernelILj256ELj1ELj32EN6common18StripedToBlockedOpEiEvPT3_j
	.p2align	8
	.type	_Z20warp_exchange_kernelILj256ELj1ELj32EN6common18StripedToBlockedOpEiEvPT3_j,@function
_Z20warp_exchange_kernelILj256ELj1ELj32EN6common18StripedToBlockedOpEiEvPT3_j: ; @_Z20warp_exchange_kernelILj256ELj1ELj32EN6common18StripedToBlockedOpEiEvPT3_j
; %bb.0:
	s_load_dword s0, s[4:5], 0x8
	s_waitcnt lgkmcnt(0)
	s_cmp_eq_u32 s0, 0
	s_cbranch_scc1 .LBB8_3
; %bb.1:
	v_mbcnt_lo_u32_b32 v2, -1, 0
	v_mbcnt_hi_u32_b32 v2, -1, v2
	v_and_b32_e32 v2, 31, v2
	v_lshlrev_b32_e32 v1, 2, v0
	v_lshlrev_b32_e32 v2, 2, v2
	s_movk_i32 s1, 0x380
	v_and_or_b32 v2, v1, s1, v2
	v_mov_b32_e32 v1, v0
.LBB8_2:                                ; =>This Inner Loop Header: Depth=1
	s_waitcnt lgkmcnt(0)
	ds_write_b32 v2, v1
	; wave barrier
	ds_read_b32 v1, v2
	s_add_i32 s0, s0, -1
	s_cmp_lg_u32 s0, 0
	; wave barrier
	s_cbranch_scc1 .LBB8_2
	s_branch .LBB8_4
.LBB8_3:
	v_mov_b32_e32 v1, v0
.LBB8_4:
	s_load_dwordx2 s[0:1], s[4:5], 0x0
	v_lshl_or_b32 v2, s6, 8, v0
	v_mov_b32_e32 v3, 0
	v_lshlrev_b64 v[2:3], 2, v[2:3]
	s_waitcnt lgkmcnt(0)
	v_mov_b32_e32 v0, s1
	v_add_co_u32_e32 v2, vcc, s0, v2
	v_addc_co_u32_e32 v3, vcc, v0, v3, vcc
	global_store_dword v[2:3], v1, off
	s_endpgm
	.section	.rodata,"a",@progbits
	.p2align	6, 0x0
	.amdhsa_kernel _Z20warp_exchange_kernelILj256ELj1ELj32EN6common18StripedToBlockedOpEiEvPT3_j
		.amdhsa_group_segment_fixed_size 1024
		.amdhsa_private_segment_fixed_size 0
		.amdhsa_kernarg_size 12
		.amdhsa_user_sgpr_count 6
		.amdhsa_user_sgpr_private_segment_buffer 1
		.amdhsa_user_sgpr_dispatch_ptr 0
		.amdhsa_user_sgpr_queue_ptr 0
		.amdhsa_user_sgpr_kernarg_segment_ptr 1
		.amdhsa_user_sgpr_dispatch_id 0
		.amdhsa_user_sgpr_flat_scratch_init 0
		.amdhsa_user_sgpr_kernarg_preload_length 0
		.amdhsa_user_sgpr_kernarg_preload_offset 0
		.amdhsa_user_sgpr_private_segment_size 0
		.amdhsa_uses_dynamic_stack 0
		.amdhsa_system_sgpr_private_segment_wavefront_offset 0
		.amdhsa_system_sgpr_workgroup_id_x 1
		.amdhsa_system_sgpr_workgroup_id_y 0
		.amdhsa_system_sgpr_workgroup_id_z 0
		.amdhsa_system_sgpr_workgroup_info 0
		.amdhsa_system_vgpr_workitem_id 0
		.amdhsa_next_free_vgpr 4
		.amdhsa_next_free_sgpr 7
		.amdhsa_accum_offset 4
		.amdhsa_reserve_vcc 1
		.amdhsa_reserve_flat_scratch 0
		.amdhsa_float_round_mode_32 0
		.amdhsa_float_round_mode_16_64 0
		.amdhsa_float_denorm_mode_32 3
		.amdhsa_float_denorm_mode_16_64 3
		.amdhsa_dx10_clamp 1
		.amdhsa_ieee_mode 1
		.amdhsa_fp16_overflow 0
		.amdhsa_tg_split 0
		.amdhsa_exception_fp_ieee_invalid_op 0
		.amdhsa_exception_fp_denorm_src 0
		.amdhsa_exception_fp_ieee_div_zero 0
		.amdhsa_exception_fp_ieee_overflow 0
		.amdhsa_exception_fp_ieee_underflow 0
		.amdhsa_exception_fp_ieee_inexact 0
		.amdhsa_exception_int_div_zero 0
	.end_amdhsa_kernel
	.section	.text._Z20warp_exchange_kernelILj256ELj1ELj32EN6common18StripedToBlockedOpEiEvPT3_j,"axG",@progbits,_Z20warp_exchange_kernelILj256ELj1ELj32EN6common18StripedToBlockedOpEiEvPT3_j,comdat
.Lfunc_end8:
	.size	_Z20warp_exchange_kernelILj256ELj1ELj32EN6common18StripedToBlockedOpEiEvPT3_j, .Lfunc_end8-_Z20warp_exchange_kernelILj256ELj1ELj32EN6common18StripedToBlockedOpEiEvPT3_j
                                        ; -- End function
	.section	.AMDGPU.csdata,"",@progbits
; Kernel info:
; codeLenInByte = 160
; NumSgprs: 11
; NumVgprs: 4
; NumAgprs: 0
; TotalNumVgprs: 4
; ScratchSize: 0
; MemoryBound: 0
; FloatMode: 240
; IeeeMode: 1
; LDSByteSize: 1024 bytes/workgroup (compile time only)
; SGPRBlocks: 1
; VGPRBlocks: 0
; NumSGPRsForWavesPerEU: 11
; NumVGPRsForWavesPerEU: 4
; AccumOffset: 4
; Occupancy: 8
; WaveLimiterHint : 0
; COMPUTE_PGM_RSRC2:SCRATCH_EN: 0
; COMPUTE_PGM_RSRC2:USER_SGPR: 6
; COMPUTE_PGM_RSRC2:TRAP_HANDLER: 0
; COMPUTE_PGM_RSRC2:TGID_X_EN: 1
; COMPUTE_PGM_RSRC2:TGID_Y_EN: 0
; COMPUTE_PGM_RSRC2:TGID_Z_EN: 0
; COMPUTE_PGM_RSRC2:TIDIG_COMP_CNT: 0
; COMPUTE_PGM_RSRC3_GFX90A:ACCUM_OFFSET: 0
; COMPUTE_PGM_RSRC3_GFX90A:TG_SPLIT: 0
	.section	.text._Z20warp_exchange_kernelILj256ELj4ELj16EN6common18StripedToBlockedOpEiEvPT3_j,"axG",@progbits,_Z20warp_exchange_kernelILj256ELj4ELj16EN6common18StripedToBlockedOpEiEvPT3_j,comdat
	.protected	_Z20warp_exchange_kernelILj256ELj4ELj16EN6common18StripedToBlockedOpEiEvPT3_j ; -- Begin function _Z20warp_exchange_kernelILj256ELj4ELj16EN6common18StripedToBlockedOpEiEvPT3_j
	.globl	_Z20warp_exchange_kernelILj256ELj4ELj16EN6common18StripedToBlockedOpEiEvPT3_j
	.p2align	8
	.type	_Z20warp_exchange_kernelILj256ELj4ELj16EN6common18StripedToBlockedOpEiEvPT3_j,@function
_Z20warp_exchange_kernelILj256ELj4ELj16EN6common18StripedToBlockedOpEiEvPT3_j: ; @_Z20warp_exchange_kernelILj256ELj4ELj16EN6common18StripedToBlockedOpEiEvPT3_j
; %bb.0:
	s_load_dword s0, s[4:5], 0x8
	v_lshlrev_b32_e32 v4, 2, v0
	v_or_b32_e32 v1, 1, v4
	v_or_b32_e32 v2, 2, v4
	;; [unrolled: 1-line block ×3, first 2 shown]
	s_waitcnt lgkmcnt(0)
	s_cmp_eq_u32 s0, 0
	s_cbranch_scc1 .LBB9_3
; %bb.1:
	v_mbcnt_lo_u32_b32 v5, -1, 0
	v_mbcnt_hi_u32_b32 v5, -1, v5
	v_and_b32_e32 v6, 15, v5
	v_lshlrev_b32_e32 v0, 4, v0
	v_lshlrev_b32_e32 v5, 2, v6
	s_movk_i32 s1, 0xf00
	v_and_or_b32 v5, v0, s1, v5
	v_mul_u32_u24_e32 v0, 12, v6
	v_add_u32_e32 v6, v5, v0
	v_mov_b32_e32 v0, v4
.LBB9_2:                                ; =>This Inner Loop Header: Depth=1
	s_waitcnt lgkmcnt(0)
	ds_write2_b32 v5, v0, v1 offset1:16
	ds_write2_b32 v5, v2, v3 offset0:32 offset1:48
	; wave barrier
	ds_read_b128 v[0:3], v6
	s_add_i32 s0, s0, -1
	s_cmp_lg_u32 s0, 0
	; wave barrier
	s_cbranch_scc1 .LBB9_2
	s_branch .LBB9_4
.LBB9_3:
	v_mov_b32_e32 v5, v1
	v_mov_b32_e32 v6, v2
	;; [unrolled: 1-line block ×3, first 2 shown]
	v_pk_mov_b32 v[0:1], v[4:5], v[4:5] op_sel:[0,1]
	v_pk_mov_b32 v[2:3], v[6:7], v[6:7] op_sel:[0,1]
.LBB9_4:
	s_load_dwordx2 s[0:1], s[4:5], 0x0
	v_lshl_or_b32 v4, s6, 10, v4
	v_mov_b32_e32 v5, 0
	v_lshlrev_b64 v[4:5], 2, v[4:5]
	s_waitcnt lgkmcnt(0)
	v_mov_b32_e32 v6, s1
	v_add_co_u32_e32 v4, vcc, s0, v4
	v_addc_co_u32_e32 v5, vcc, v6, v5, vcc
	global_store_dwordx4 v[4:5], v[0:3], off
	s_endpgm
	.section	.rodata,"a",@progbits
	.p2align	6, 0x0
	.amdhsa_kernel _Z20warp_exchange_kernelILj256ELj4ELj16EN6common18StripedToBlockedOpEiEvPT3_j
		.amdhsa_group_segment_fixed_size 4096
		.amdhsa_private_segment_fixed_size 0
		.amdhsa_kernarg_size 12
		.amdhsa_user_sgpr_count 6
		.amdhsa_user_sgpr_private_segment_buffer 1
		.amdhsa_user_sgpr_dispatch_ptr 0
		.amdhsa_user_sgpr_queue_ptr 0
		.amdhsa_user_sgpr_kernarg_segment_ptr 1
		.amdhsa_user_sgpr_dispatch_id 0
		.amdhsa_user_sgpr_flat_scratch_init 0
		.amdhsa_user_sgpr_kernarg_preload_length 0
		.amdhsa_user_sgpr_kernarg_preload_offset 0
		.amdhsa_user_sgpr_private_segment_size 0
		.amdhsa_uses_dynamic_stack 0
		.amdhsa_system_sgpr_private_segment_wavefront_offset 0
		.amdhsa_system_sgpr_workgroup_id_x 1
		.amdhsa_system_sgpr_workgroup_id_y 0
		.amdhsa_system_sgpr_workgroup_id_z 0
		.amdhsa_system_sgpr_workgroup_info 0
		.amdhsa_system_vgpr_workitem_id 0
		.amdhsa_next_free_vgpr 8
		.amdhsa_next_free_sgpr 7
		.amdhsa_accum_offset 8
		.amdhsa_reserve_vcc 1
		.amdhsa_reserve_flat_scratch 0
		.amdhsa_float_round_mode_32 0
		.amdhsa_float_round_mode_16_64 0
		.amdhsa_float_denorm_mode_32 3
		.amdhsa_float_denorm_mode_16_64 3
		.amdhsa_dx10_clamp 1
		.amdhsa_ieee_mode 1
		.amdhsa_fp16_overflow 0
		.amdhsa_tg_split 0
		.amdhsa_exception_fp_ieee_invalid_op 0
		.amdhsa_exception_fp_denorm_src 0
		.amdhsa_exception_fp_ieee_div_zero 0
		.amdhsa_exception_fp_ieee_overflow 0
		.amdhsa_exception_fp_ieee_underflow 0
		.amdhsa_exception_fp_ieee_inexact 0
		.amdhsa_exception_int_div_zero 0
	.end_amdhsa_kernel
	.section	.text._Z20warp_exchange_kernelILj256ELj4ELj16EN6common18StripedToBlockedOpEiEvPT3_j,"axG",@progbits,_Z20warp_exchange_kernelILj256ELj4ELj16EN6common18StripedToBlockedOpEiEvPT3_j,comdat
.Lfunc_end9:
	.size	_Z20warp_exchange_kernelILj256ELj4ELj16EN6common18StripedToBlockedOpEiEvPT3_j, .Lfunc_end9-_Z20warp_exchange_kernelILj256ELj4ELj16EN6common18StripedToBlockedOpEiEvPT3_j
                                        ; -- End function
	.section	.AMDGPU.csdata,"",@progbits
; Kernel info:
; codeLenInByte = 216
; NumSgprs: 11
; NumVgprs: 8
; NumAgprs: 0
; TotalNumVgprs: 8
; ScratchSize: 0
; MemoryBound: 0
; FloatMode: 240
; IeeeMode: 1
; LDSByteSize: 4096 bytes/workgroup (compile time only)
; SGPRBlocks: 1
; VGPRBlocks: 0
; NumSGPRsForWavesPerEU: 11
; NumVGPRsForWavesPerEU: 8
; AccumOffset: 8
; Occupancy: 8
; WaveLimiterHint : 0
; COMPUTE_PGM_RSRC2:SCRATCH_EN: 0
; COMPUTE_PGM_RSRC2:USER_SGPR: 6
; COMPUTE_PGM_RSRC2:TRAP_HANDLER: 0
; COMPUTE_PGM_RSRC2:TGID_X_EN: 1
; COMPUTE_PGM_RSRC2:TGID_Y_EN: 0
; COMPUTE_PGM_RSRC2:TGID_Z_EN: 0
; COMPUTE_PGM_RSRC2:TIDIG_COMP_CNT: 0
; COMPUTE_PGM_RSRC3_GFX90A:ACCUM_OFFSET: 1
; COMPUTE_PGM_RSRC3_GFX90A:TG_SPLIT: 0
	.section	.text._Z20warp_exchange_kernelILj256ELj4ELj32EN6common18StripedToBlockedOpEiEvPT3_j,"axG",@progbits,_Z20warp_exchange_kernelILj256ELj4ELj32EN6common18StripedToBlockedOpEiEvPT3_j,comdat
	.protected	_Z20warp_exchange_kernelILj256ELj4ELj32EN6common18StripedToBlockedOpEiEvPT3_j ; -- Begin function _Z20warp_exchange_kernelILj256ELj4ELj32EN6common18StripedToBlockedOpEiEvPT3_j
	.globl	_Z20warp_exchange_kernelILj256ELj4ELj32EN6common18StripedToBlockedOpEiEvPT3_j
	.p2align	8
	.type	_Z20warp_exchange_kernelILj256ELj4ELj32EN6common18StripedToBlockedOpEiEvPT3_j,@function
_Z20warp_exchange_kernelILj256ELj4ELj32EN6common18StripedToBlockedOpEiEvPT3_j: ; @_Z20warp_exchange_kernelILj256ELj4ELj32EN6common18StripedToBlockedOpEiEvPT3_j
; %bb.0:
	s_load_dword s0, s[4:5], 0x8
	v_lshlrev_b32_e32 v4, 2, v0
	v_or_b32_e32 v1, 1, v4
	v_or_b32_e32 v2, 2, v4
	;; [unrolled: 1-line block ×3, first 2 shown]
	s_waitcnt lgkmcnt(0)
	s_cmp_eq_u32 s0, 0
	s_cbranch_scc1 .LBB10_3
; %bb.1:
	v_mbcnt_lo_u32_b32 v5, -1, 0
	v_mbcnt_hi_u32_b32 v5, -1, v5
	v_and_b32_e32 v6, 31, v5
	v_lshlrev_b32_e32 v0, 4, v0
	v_lshlrev_b32_e32 v5, 2, v6
	s_movk_i32 s1, 0xe00
	v_and_or_b32 v5, v0, s1, v5
	v_mul_u32_u24_e32 v0, 12, v6
	v_add_u32_e32 v6, v5, v0
	v_mov_b32_e32 v0, v4
.LBB10_2:                               ; =>This Inner Loop Header: Depth=1
	s_waitcnt lgkmcnt(0)
	ds_write2_b32 v5, v0, v1 offset1:32
	ds_write2_b32 v5, v2, v3 offset0:64 offset1:96
	; wave barrier
	ds_read_b128 v[0:3], v6
	s_add_i32 s0, s0, -1
	s_cmp_lg_u32 s0, 0
	; wave barrier
	s_cbranch_scc1 .LBB10_2
	s_branch .LBB10_4
.LBB10_3:
	v_mov_b32_e32 v5, v1
	v_mov_b32_e32 v6, v2
	;; [unrolled: 1-line block ×3, first 2 shown]
	v_pk_mov_b32 v[0:1], v[4:5], v[4:5] op_sel:[0,1]
	v_pk_mov_b32 v[2:3], v[6:7], v[6:7] op_sel:[0,1]
.LBB10_4:
	s_load_dwordx2 s[0:1], s[4:5], 0x0
	v_lshl_or_b32 v4, s6, 10, v4
	v_mov_b32_e32 v5, 0
	v_lshlrev_b64 v[4:5], 2, v[4:5]
	s_waitcnt lgkmcnt(0)
	v_mov_b32_e32 v6, s1
	v_add_co_u32_e32 v4, vcc, s0, v4
	v_addc_co_u32_e32 v5, vcc, v6, v5, vcc
	global_store_dwordx4 v[4:5], v[0:3], off
	s_endpgm
	.section	.rodata,"a",@progbits
	.p2align	6, 0x0
	.amdhsa_kernel _Z20warp_exchange_kernelILj256ELj4ELj32EN6common18StripedToBlockedOpEiEvPT3_j
		.amdhsa_group_segment_fixed_size 4096
		.amdhsa_private_segment_fixed_size 0
		.amdhsa_kernarg_size 12
		.amdhsa_user_sgpr_count 6
		.amdhsa_user_sgpr_private_segment_buffer 1
		.amdhsa_user_sgpr_dispatch_ptr 0
		.amdhsa_user_sgpr_queue_ptr 0
		.amdhsa_user_sgpr_kernarg_segment_ptr 1
		.amdhsa_user_sgpr_dispatch_id 0
		.amdhsa_user_sgpr_flat_scratch_init 0
		.amdhsa_user_sgpr_kernarg_preload_length 0
		.amdhsa_user_sgpr_kernarg_preload_offset 0
		.amdhsa_user_sgpr_private_segment_size 0
		.amdhsa_uses_dynamic_stack 0
		.amdhsa_system_sgpr_private_segment_wavefront_offset 0
		.amdhsa_system_sgpr_workgroup_id_x 1
		.amdhsa_system_sgpr_workgroup_id_y 0
		.amdhsa_system_sgpr_workgroup_id_z 0
		.amdhsa_system_sgpr_workgroup_info 0
		.amdhsa_system_vgpr_workitem_id 0
		.amdhsa_next_free_vgpr 8
		.amdhsa_next_free_sgpr 7
		.amdhsa_accum_offset 8
		.amdhsa_reserve_vcc 1
		.amdhsa_reserve_flat_scratch 0
		.amdhsa_float_round_mode_32 0
		.amdhsa_float_round_mode_16_64 0
		.amdhsa_float_denorm_mode_32 3
		.amdhsa_float_denorm_mode_16_64 3
		.amdhsa_dx10_clamp 1
		.amdhsa_ieee_mode 1
		.amdhsa_fp16_overflow 0
		.amdhsa_tg_split 0
		.amdhsa_exception_fp_ieee_invalid_op 0
		.amdhsa_exception_fp_denorm_src 0
		.amdhsa_exception_fp_ieee_div_zero 0
		.amdhsa_exception_fp_ieee_overflow 0
		.amdhsa_exception_fp_ieee_underflow 0
		.amdhsa_exception_fp_ieee_inexact 0
		.amdhsa_exception_int_div_zero 0
	.end_amdhsa_kernel
	.section	.text._Z20warp_exchange_kernelILj256ELj4ELj32EN6common18StripedToBlockedOpEiEvPT3_j,"axG",@progbits,_Z20warp_exchange_kernelILj256ELj4ELj32EN6common18StripedToBlockedOpEiEvPT3_j,comdat
.Lfunc_end10:
	.size	_Z20warp_exchange_kernelILj256ELj4ELj32EN6common18StripedToBlockedOpEiEvPT3_j, .Lfunc_end10-_Z20warp_exchange_kernelILj256ELj4ELj32EN6common18StripedToBlockedOpEiEvPT3_j
                                        ; -- End function
	.section	.AMDGPU.csdata,"",@progbits
; Kernel info:
; codeLenInByte = 216
; NumSgprs: 11
; NumVgprs: 8
; NumAgprs: 0
; TotalNumVgprs: 8
; ScratchSize: 0
; MemoryBound: 0
; FloatMode: 240
; IeeeMode: 1
; LDSByteSize: 4096 bytes/workgroup (compile time only)
; SGPRBlocks: 1
; VGPRBlocks: 0
; NumSGPRsForWavesPerEU: 11
; NumVGPRsForWavesPerEU: 8
; AccumOffset: 8
; Occupancy: 8
; WaveLimiterHint : 0
; COMPUTE_PGM_RSRC2:SCRATCH_EN: 0
; COMPUTE_PGM_RSRC2:USER_SGPR: 6
; COMPUTE_PGM_RSRC2:TRAP_HANDLER: 0
; COMPUTE_PGM_RSRC2:TGID_X_EN: 1
; COMPUTE_PGM_RSRC2:TGID_Y_EN: 0
; COMPUTE_PGM_RSRC2:TGID_Z_EN: 0
; COMPUTE_PGM_RSRC2:TIDIG_COMP_CNT: 0
; COMPUTE_PGM_RSRC3_GFX90A:ACCUM_OFFSET: 1
; COMPUTE_PGM_RSRC3_GFX90A:TG_SPLIT: 0
	.section	.text._Z20warp_exchange_kernelILj256ELj16ELj16EN6common18StripedToBlockedOpEiEvPT3_j,"axG",@progbits,_Z20warp_exchange_kernelILj256ELj16ELj16EN6common18StripedToBlockedOpEiEvPT3_j,comdat
	.protected	_Z20warp_exchange_kernelILj256ELj16ELj16EN6common18StripedToBlockedOpEiEvPT3_j ; -- Begin function _Z20warp_exchange_kernelILj256ELj16ELj16EN6common18StripedToBlockedOpEiEvPT3_j
	.globl	_Z20warp_exchange_kernelILj256ELj16ELj16EN6common18StripedToBlockedOpEiEvPT3_j
	.p2align	8
	.type	_Z20warp_exchange_kernelILj256ELj16ELj16EN6common18StripedToBlockedOpEiEvPT3_j,@function
_Z20warp_exchange_kernelILj256ELj16ELj16EN6common18StripedToBlockedOpEiEvPT3_j: ; @_Z20warp_exchange_kernelILj256ELj16ELj16EN6common18StripedToBlockedOpEiEvPT3_j
; %bb.0:
	s_load_dword s0, s[4:5], 0x8
	v_lshlrev_b32_e32 v18, 4, v0
	v_or_b32_e32 v15, 1, v18
	v_or_b32_e32 v17, 3, v18
	;; [unrolled: 1-line block ×14, first 2 shown]
	s_waitcnt lgkmcnt(0)
	s_cmp_eq_u32 s0, 0
	v_or_b32_e32 v4, 14, v18
	s_cbranch_scc1 .LBB11_3
; %bb.1:
	v_mbcnt_lo_u32_b32 v1, -1, 0
	v_mbcnt_hi_u32_b32 v1, -1, v1
	v_and_b32_e32 v1, 15, v1
	v_lshlrev_b32_e32 v0, 6, v0
	v_lshlrev_b32_e32 v14, 2, v1
	s_movk_i32 s1, 0x3c00
	v_and_or_b32 v0, v0, s1, v14
	v_mul_u32_u24_e32 v1, 60, v1
	v_add_u32_e32 v1, v0, v1
	v_mov_b32_e32 v14, v18
.LBB11_2:                               ; =>This Inner Loop Header: Depth=1
	s_waitcnt lgkmcnt(3)
	ds_write2_b32 v0, v14, v15 offset1:16
	ds_write2_b32 v0, v16, v17 offset0:32 offset1:48
	s_waitcnt lgkmcnt(4)
	ds_write2_b32 v0, v10, v11 offset0:64 offset1:80
	ds_write2_b32 v0, v12, v13 offset0:96 offset1:112
	s_waitcnt lgkmcnt(5)
	ds_write2_b32 v0, v6, v7 offset0:128 offset1:144
	;; [unrolled: 3-line block ×3, first 2 shown]
	ds_write2_b32 v0, v4, v5 offset0:224 offset1:240
	; wave barrier
	ds_read_b128 v[14:17], v1
	ds_read_b128 v[10:13], v1 offset:16
	ds_read_b128 v[6:9], v1 offset:32
	;; [unrolled: 1-line block ×3, first 2 shown]
	s_add_i32 s0, s0, -1
	s_cmp_lg_u32 s0, 0
	; wave barrier
	s_cbranch_scc1 .LBB11_2
	s_branch .LBB11_4
.LBB11_3:
	v_mov_b32_e32 v19, v15
	v_pk_mov_b32 v[14:15], v[18:19], v[18:19] op_sel:[0,1]
.LBB11_4:
	s_load_dwordx2 s[0:1], s[4:5], 0x0
	v_lshl_or_b32 v0, s6, 12, v18
	v_mov_b32_e32 v1, 0
	v_lshlrev_b64 v[0:1], 2, v[0:1]
	s_waitcnt lgkmcnt(0)
	v_mov_b32_e32 v18, s1
	v_add_co_u32_e32 v0, vcc, s0, v0
	v_addc_co_u32_e32 v1, vcc, v18, v1, vcc
	global_store_dwordx4 v[0:1], v[14:17], off
	global_store_dwordx4 v[0:1], v[10:13], off offset:16
	global_store_dwordx4 v[0:1], v[6:9], off offset:32
	;; [unrolled: 1-line block ×3, first 2 shown]
	s_endpgm
	.section	.rodata,"a",@progbits
	.p2align	6, 0x0
	.amdhsa_kernel _Z20warp_exchange_kernelILj256ELj16ELj16EN6common18StripedToBlockedOpEiEvPT3_j
		.amdhsa_group_segment_fixed_size 16384
		.amdhsa_private_segment_fixed_size 0
		.amdhsa_kernarg_size 12
		.amdhsa_user_sgpr_count 6
		.amdhsa_user_sgpr_private_segment_buffer 1
		.amdhsa_user_sgpr_dispatch_ptr 0
		.amdhsa_user_sgpr_queue_ptr 0
		.amdhsa_user_sgpr_kernarg_segment_ptr 1
		.amdhsa_user_sgpr_dispatch_id 0
		.amdhsa_user_sgpr_flat_scratch_init 0
		.amdhsa_user_sgpr_kernarg_preload_length 0
		.amdhsa_user_sgpr_kernarg_preload_offset 0
		.amdhsa_user_sgpr_private_segment_size 0
		.amdhsa_uses_dynamic_stack 0
		.amdhsa_system_sgpr_private_segment_wavefront_offset 0
		.amdhsa_system_sgpr_workgroup_id_x 1
		.amdhsa_system_sgpr_workgroup_id_y 0
		.amdhsa_system_sgpr_workgroup_id_z 0
		.amdhsa_system_sgpr_workgroup_info 0
		.amdhsa_system_vgpr_workitem_id 0
		.amdhsa_next_free_vgpr 20
		.amdhsa_next_free_sgpr 7
		.amdhsa_accum_offset 20
		.amdhsa_reserve_vcc 1
		.amdhsa_reserve_flat_scratch 0
		.amdhsa_float_round_mode_32 0
		.amdhsa_float_round_mode_16_64 0
		.amdhsa_float_denorm_mode_32 3
		.amdhsa_float_denorm_mode_16_64 3
		.amdhsa_dx10_clamp 1
		.amdhsa_ieee_mode 1
		.amdhsa_fp16_overflow 0
		.amdhsa_tg_split 0
		.amdhsa_exception_fp_ieee_invalid_op 0
		.amdhsa_exception_fp_denorm_src 0
		.amdhsa_exception_fp_ieee_div_zero 0
		.amdhsa_exception_fp_ieee_overflow 0
		.amdhsa_exception_fp_ieee_underflow 0
		.amdhsa_exception_fp_ieee_inexact 0
		.amdhsa_exception_int_div_zero 0
	.end_amdhsa_kernel
	.section	.text._Z20warp_exchange_kernelILj256ELj16ELj16EN6common18StripedToBlockedOpEiEvPT3_j,"axG",@progbits,_Z20warp_exchange_kernelILj256ELj16ELj16EN6common18StripedToBlockedOpEiEvPT3_j,comdat
.Lfunc_end11:
	.size	_Z20warp_exchange_kernelILj256ELj16ELj16EN6common18StripedToBlockedOpEiEvPT3_j, .Lfunc_end11-_Z20warp_exchange_kernelILj256ELj16ELj16EN6common18StripedToBlockedOpEiEvPT3_j
                                        ; -- End function
	.section	.AMDGPU.csdata,"",@progbits
; Kernel info:
; codeLenInByte = 356
; NumSgprs: 11
; NumVgprs: 20
; NumAgprs: 0
; TotalNumVgprs: 20
; ScratchSize: 0
; MemoryBound: 0
; FloatMode: 240
; IeeeMode: 1
; LDSByteSize: 16384 bytes/workgroup (compile time only)
; SGPRBlocks: 1
; VGPRBlocks: 2
; NumSGPRsForWavesPerEU: 11
; NumVGPRsForWavesPerEU: 20
; AccumOffset: 20
; Occupancy: 4
; WaveLimiterHint : 0
; COMPUTE_PGM_RSRC2:SCRATCH_EN: 0
; COMPUTE_PGM_RSRC2:USER_SGPR: 6
; COMPUTE_PGM_RSRC2:TRAP_HANDLER: 0
; COMPUTE_PGM_RSRC2:TGID_X_EN: 1
; COMPUTE_PGM_RSRC2:TGID_Y_EN: 0
; COMPUTE_PGM_RSRC2:TGID_Z_EN: 0
; COMPUTE_PGM_RSRC2:TIDIG_COMP_CNT: 0
; COMPUTE_PGM_RSRC3_GFX90A:ACCUM_OFFSET: 4
; COMPUTE_PGM_RSRC3_GFX90A:TG_SPLIT: 0
	.section	.text._Z20warp_exchange_kernelILj256ELj16ELj32EN6common18StripedToBlockedOpEiEvPT3_j,"axG",@progbits,_Z20warp_exchange_kernelILj256ELj16ELj32EN6common18StripedToBlockedOpEiEvPT3_j,comdat
	.protected	_Z20warp_exchange_kernelILj256ELj16ELj32EN6common18StripedToBlockedOpEiEvPT3_j ; -- Begin function _Z20warp_exchange_kernelILj256ELj16ELj32EN6common18StripedToBlockedOpEiEvPT3_j
	.globl	_Z20warp_exchange_kernelILj256ELj16ELj32EN6common18StripedToBlockedOpEiEvPT3_j
	.p2align	8
	.type	_Z20warp_exchange_kernelILj256ELj16ELj32EN6common18StripedToBlockedOpEiEvPT3_j,@function
_Z20warp_exchange_kernelILj256ELj16ELj32EN6common18StripedToBlockedOpEiEvPT3_j: ; @_Z20warp_exchange_kernelILj256ELj16ELj32EN6common18StripedToBlockedOpEiEvPT3_j
; %bb.0:
	s_load_dword s0, s[4:5], 0x8
	v_lshlrev_b32_e32 v18, 4, v0
	v_or_b32_e32 v15, 1, v18
	v_or_b32_e32 v17, 3, v18
	;; [unrolled: 1-line block ×14, first 2 shown]
	s_waitcnt lgkmcnt(0)
	s_cmp_eq_u32 s0, 0
	v_or_b32_e32 v4, 14, v18
	s_cbranch_scc1 .LBB12_3
; %bb.1:
	v_mbcnt_lo_u32_b32 v1, -1, 0
	v_mbcnt_hi_u32_b32 v1, -1, v1
	v_and_b32_e32 v1, 31, v1
	v_lshlrev_b32_e32 v0, 6, v0
	v_lshlrev_b32_e32 v14, 2, v1
	s_movk_i32 s1, 0x3800
	v_and_or_b32 v0, v0, s1, v14
	v_mul_u32_u24_e32 v1, 60, v1
	v_add_u32_e32 v1, v0, v1
	v_add_u32_e32 v19, 0x400, v0
	v_mov_b32_e32 v14, v18
.LBB12_2:                               ; =>This Inner Loop Header: Depth=1
	s_waitcnt lgkmcnt(3)
	ds_write2_b32 v0, v14, v15 offset1:32
	ds_write2_b32 v0, v16, v17 offset0:64 offset1:96
	s_waitcnt lgkmcnt(4)
	ds_write2_b32 v0, v10, v11 offset0:128 offset1:160
	ds_write2_b32 v0, v12, v13 offset0:192 offset1:224
	s_waitcnt lgkmcnt(5)
	ds_write2_b32 v19, v6, v7 offset1:32
	ds_write2_b32 v19, v8, v9 offset0:64 offset1:96
	s_waitcnt lgkmcnt(6)
	ds_write2_b32 v19, v2, v3 offset0:128 offset1:160
	ds_write2_b32 v19, v4, v5 offset0:192 offset1:224
	; wave barrier
	ds_read_b128 v[14:17], v1
	ds_read_b128 v[10:13], v1 offset:16
	ds_read_b128 v[6:9], v1 offset:32
	;; [unrolled: 1-line block ×3, first 2 shown]
	s_add_i32 s0, s0, -1
	s_cmp_lg_u32 s0, 0
	; wave barrier
	s_cbranch_scc1 .LBB12_2
	s_branch .LBB12_4
.LBB12_3:
	v_mov_b32_e32 v19, v15
	v_pk_mov_b32 v[14:15], v[18:19], v[18:19] op_sel:[0,1]
.LBB12_4:
	s_load_dwordx2 s[0:1], s[4:5], 0x0
	v_lshl_or_b32 v0, s6, 12, v18
	v_mov_b32_e32 v1, 0
	v_lshlrev_b64 v[0:1], 2, v[0:1]
	s_waitcnt lgkmcnt(0)
	v_mov_b32_e32 v18, s1
	v_add_co_u32_e32 v0, vcc, s0, v0
	v_addc_co_u32_e32 v1, vcc, v18, v1, vcc
	global_store_dwordx4 v[0:1], v[14:17], off
	global_store_dwordx4 v[0:1], v[10:13], off offset:16
	global_store_dwordx4 v[0:1], v[6:9], off offset:32
	;; [unrolled: 1-line block ×3, first 2 shown]
	s_endpgm
	.section	.rodata,"a",@progbits
	.p2align	6, 0x0
	.amdhsa_kernel _Z20warp_exchange_kernelILj256ELj16ELj32EN6common18StripedToBlockedOpEiEvPT3_j
		.amdhsa_group_segment_fixed_size 16384
		.amdhsa_private_segment_fixed_size 0
		.amdhsa_kernarg_size 12
		.amdhsa_user_sgpr_count 6
		.amdhsa_user_sgpr_private_segment_buffer 1
		.amdhsa_user_sgpr_dispatch_ptr 0
		.amdhsa_user_sgpr_queue_ptr 0
		.amdhsa_user_sgpr_kernarg_segment_ptr 1
		.amdhsa_user_sgpr_dispatch_id 0
		.amdhsa_user_sgpr_flat_scratch_init 0
		.amdhsa_user_sgpr_kernarg_preload_length 0
		.amdhsa_user_sgpr_kernarg_preload_offset 0
		.amdhsa_user_sgpr_private_segment_size 0
		.amdhsa_uses_dynamic_stack 0
		.amdhsa_system_sgpr_private_segment_wavefront_offset 0
		.amdhsa_system_sgpr_workgroup_id_x 1
		.amdhsa_system_sgpr_workgroup_id_y 0
		.amdhsa_system_sgpr_workgroup_id_z 0
		.amdhsa_system_sgpr_workgroup_info 0
		.amdhsa_system_vgpr_workitem_id 0
		.amdhsa_next_free_vgpr 20
		.amdhsa_next_free_sgpr 7
		.amdhsa_accum_offset 20
		.amdhsa_reserve_vcc 1
		.amdhsa_reserve_flat_scratch 0
		.amdhsa_float_round_mode_32 0
		.amdhsa_float_round_mode_16_64 0
		.amdhsa_float_denorm_mode_32 3
		.amdhsa_float_denorm_mode_16_64 3
		.amdhsa_dx10_clamp 1
		.amdhsa_ieee_mode 1
		.amdhsa_fp16_overflow 0
		.amdhsa_tg_split 0
		.amdhsa_exception_fp_ieee_invalid_op 0
		.amdhsa_exception_fp_denorm_src 0
		.amdhsa_exception_fp_ieee_div_zero 0
		.amdhsa_exception_fp_ieee_overflow 0
		.amdhsa_exception_fp_ieee_underflow 0
		.amdhsa_exception_fp_ieee_inexact 0
		.amdhsa_exception_int_div_zero 0
	.end_amdhsa_kernel
	.section	.text._Z20warp_exchange_kernelILj256ELj16ELj32EN6common18StripedToBlockedOpEiEvPT3_j,"axG",@progbits,_Z20warp_exchange_kernelILj256ELj16ELj32EN6common18StripedToBlockedOpEiEvPT3_j,comdat
.Lfunc_end12:
	.size	_Z20warp_exchange_kernelILj256ELj16ELj32EN6common18StripedToBlockedOpEiEvPT3_j, .Lfunc_end12-_Z20warp_exchange_kernelILj256ELj16ELj32EN6common18StripedToBlockedOpEiEvPT3_j
                                        ; -- End function
	.section	.AMDGPU.csdata,"",@progbits
; Kernel info:
; codeLenInByte = 364
; NumSgprs: 11
; NumVgprs: 20
; NumAgprs: 0
; TotalNumVgprs: 20
; ScratchSize: 0
; MemoryBound: 0
; FloatMode: 240
; IeeeMode: 1
; LDSByteSize: 16384 bytes/workgroup (compile time only)
; SGPRBlocks: 1
; VGPRBlocks: 2
; NumSGPRsForWavesPerEU: 11
; NumVGPRsForWavesPerEU: 20
; AccumOffset: 20
; Occupancy: 4
; WaveLimiterHint : 0
; COMPUTE_PGM_RSRC2:SCRATCH_EN: 0
; COMPUTE_PGM_RSRC2:USER_SGPR: 6
; COMPUTE_PGM_RSRC2:TRAP_HANDLER: 0
; COMPUTE_PGM_RSRC2:TGID_X_EN: 1
; COMPUTE_PGM_RSRC2:TGID_Y_EN: 0
; COMPUTE_PGM_RSRC2:TGID_Z_EN: 0
; COMPUTE_PGM_RSRC2:TIDIG_COMP_CNT: 0
; COMPUTE_PGM_RSRC3_GFX90A:ACCUM_OFFSET: 4
; COMPUTE_PGM_RSRC3_GFX90A:TG_SPLIT: 0
	.section	.text._Z20warp_exchange_kernelILj256ELj32ELj32EN6common18StripedToBlockedOpEiEvPT3_j,"axG",@progbits,_Z20warp_exchange_kernelILj256ELj32ELj32EN6common18StripedToBlockedOpEiEvPT3_j,comdat
	.protected	_Z20warp_exchange_kernelILj256ELj32ELj32EN6common18StripedToBlockedOpEiEvPT3_j ; -- Begin function _Z20warp_exchange_kernelILj256ELj32ELj32EN6common18StripedToBlockedOpEiEvPT3_j
	.globl	_Z20warp_exchange_kernelILj256ELj32ELj32EN6common18StripedToBlockedOpEiEvPT3_j
	.p2align	8
	.type	_Z20warp_exchange_kernelILj256ELj32ELj32EN6common18StripedToBlockedOpEiEvPT3_j,@function
_Z20warp_exchange_kernelILj256ELj32ELj32EN6common18StripedToBlockedOpEiEvPT3_j: ; @_Z20warp_exchange_kernelILj256ELj32ELj32EN6common18StripedToBlockedOpEiEvPT3_j
; %bb.0:
	s_load_dword s0, s[4:5], 0x8
	v_lshlrev_b32_e32 v34, 5, v0
	v_or_b32_e32 v15, 1, v34
	v_or_b32_e32 v17, 3, v34
	v_or_b32_e32 v16, 2, v34
	v_or_b32_e32 v11, 5, v34
	v_or_b32_e32 v10, 4, v34
	v_or_b32_e32 v13, 7, v34
	v_or_b32_e32 v12, 6, v34
	v_or_b32_e32 v7, 9, v34
	v_or_b32_e32 v6, 8, v34
	v_or_b32_e32 v9, 11, v34
	v_or_b32_e32 v8, 10, v34
	v_or_b32_e32 v3, 13, v34
	v_or_b32_e32 v2, 12, v34
	v_or_b32_e32 v5, 15, v34
	v_or_b32_e32 v4, 14, v34
	v_or_b32_e32 v19, 17, v34
	v_or_b32_e32 v18, 16, v34
	v_or_b32_e32 v21, 19, v34
	v_or_b32_e32 v20, 18, v34
	v_or_b32_e32 v23, 21, v34
	v_or_b32_e32 v22, 20, v34
	v_or_b32_e32 v25, 23, v34
	v_or_b32_e32 v24, 22, v34
	v_or_b32_e32 v27, 25, v34
	v_or_b32_e32 v26, 24, v34
	v_or_b32_e32 v29, 27, v34
	v_or_b32_e32 v28, 26, v34
	v_or_b32_e32 v31, 29, v34
	v_or_b32_e32 v30, 28, v34
	v_or_b32_e32 v33, 31, v34
	s_waitcnt lgkmcnt(0)
	s_cmp_eq_u32 s0, 0
	v_or_b32_e32 v32, 30, v34
	s_cbranch_scc1 .LBB13_3
; %bb.1:
	v_mbcnt_lo_u32_b32 v1, -1, 0
	v_mbcnt_hi_u32_b32 v1, -1, v1
	v_and_b32_e32 v1, 31, v1
	v_lshlrev_b32_e32 v0, 7, v0
	v_lshlrev_b32_e32 v14, 2, v1
	s_movk_i32 s1, 0x7000
	v_and_or_b32 v0, v0, s1, v14
	v_mul_u32_u24_e32 v1, 0x7c, v1
	v_add_u32_e32 v1, v0, v1
	v_add_u32_e32 v35, 0x400, v0
	;; [unrolled: 1-line block ×4, first 2 shown]
	v_mov_b32_e32 v14, v34
.LBB13_2:                               ; =>This Inner Loop Header: Depth=1
	s_waitcnt lgkmcnt(7)
	ds_write2_b32 v0, v14, v15 offset1:32
	ds_write2_b32 v0, v16, v17 offset0:64 offset1:96
	s_waitcnt lgkmcnt(8)
	ds_write2_b32 v0, v10, v11 offset0:128 offset1:160
	ds_write2_b32 v0, v12, v13 offset0:192 offset1:224
	s_waitcnt lgkmcnt(9)
	ds_write2_b32 v35, v6, v7 offset1:32
	ds_write2_b32 v35, v8, v9 offset0:64 offset1:96
	s_waitcnt lgkmcnt(10)
	ds_write2_b32 v35, v2, v3 offset0:128 offset1:160
	ds_write2_b32 v35, v4, v5 offset0:192 offset1:224
	;; [unrolled: 6-line block ×4, first 2 shown]
	; wave barrier
	ds_read_b128 v[14:17], v1
	ds_read_b128 v[10:13], v1 offset:16
	ds_read_b128 v[6:9], v1 offset:32
	;; [unrolled: 1-line block ×7, first 2 shown]
	s_add_i32 s0, s0, -1
	s_cmp_lg_u32 s0, 0
	; wave barrier
	s_cbranch_scc1 .LBB13_2
	s_branch .LBB13_4
.LBB13_3:
	v_mov_b32_e32 v35, v15
	v_pk_mov_b32 v[14:15], v[34:35], v[34:35] op_sel:[0,1]
.LBB13_4:
	s_load_dwordx2 s[0:1], s[4:5], 0x0
	v_lshl_or_b32 v0, s6, 13, v34
	v_mov_b32_e32 v1, 0
	v_lshlrev_b64 v[0:1], 2, v[0:1]
	s_waitcnt lgkmcnt(0)
	v_mov_b32_e32 v34, s1
	v_add_co_u32_e32 v0, vcc, s0, v0
	v_addc_co_u32_e32 v1, vcc, v34, v1, vcc
	global_store_dwordx4 v[0:1], v[14:17], off
	global_store_dwordx4 v[0:1], v[10:13], off offset:16
	global_store_dwordx4 v[0:1], v[6:9], off offset:32
	;; [unrolled: 1-line block ×7, first 2 shown]
	s_endpgm
	.section	.rodata,"a",@progbits
	.p2align	6, 0x0
	.amdhsa_kernel _Z20warp_exchange_kernelILj256ELj32ELj32EN6common18StripedToBlockedOpEiEvPT3_j
		.amdhsa_group_segment_fixed_size 32768
		.amdhsa_private_segment_fixed_size 0
		.amdhsa_kernarg_size 12
		.amdhsa_user_sgpr_count 6
		.amdhsa_user_sgpr_private_segment_buffer 1
		.amdhsa_user_sgpr_dispatch_ptr 0
		.amdhsa_user_sgpr_queue_ptr 0
		.amdhsa_user_sgpr_kernarg_segment_ptr 1
		.amdhsa_user_sgpr_dispatch_id 0
		.amdhsa_user_sgpr_flat_scratch_init 0
		.amdhsa_user_sgpr_kernarg_preload_length 0
		.amdhsa_user_sgpr_kernarg_preload_offset 0
		.amdhsa_user_sgpr_private_segment_size 0
		.amdhsa_uses_dynamic_stack 0
		.amdhsa_system_sgpr_private_segment_wavefront_offset 0
		.amdhsa_system_sgpr_workgroup_id_x 1
		.amdhsa_system_sgpr_workgroup_id_y 0
		.amdhsa_system_sgpr_workgroup_id_z 0
		.amdhsa_system_sgpr_workgroup_info 0
		.amdhsa_system_vgpr_workitem_id 0
		.amdhsa_next_free_vgpr 38
		.amdhsa_next_free_sgpr 7
		.amdhsa_accum_offset 40
		.amdhsa_reserve_vcc 1
		.amdhsa_reserve_flat_scratch 0
		.amdhsa_float_round_mode_32 0
		.amdhsa_float_round_mode_16_64 0
		.amdhsa_float_denorm_mode_32 3
		.amdhsa_float_denorm_mode_16_64 3
		.amdhsa_dx10_clamp 1
		.amdhsa_ieee_mode 1
		.amdhsa_fp16_overflow 0
		.amdhsa_tg_split 0
		.amdhsa_exception_fp_ieee_invalid_op 0
		.amdhsa_exception_fp_denorm_src 0
		.amdhsa_exception_fp_ieee_div_zero 0
		.amdhsa_exception_fp_ieee_overflow 0
		.amdhsa_exception_fp_ieee_underflow 0
		.amdhsa_exception_fp_ieee_inexact 0
		.amdhsa_exception_int_div_zero 0
	.end_amdhsa_kernel
	.section	.text._Z20warp_exchange_kernelILj256ELj32ELj32EN6common18StripedToBlockedOpEiEvPT3_j,"axG",@progbits,_Z20warp_exchange_kernelILj256ELj32ELj32EN6common18StripedToBlockedOpEiEvPT3_j,comdat
.Lfunc_end13:
	.size	_Z20warp_exchange_kernelILj256ELj32ELj32EN6common18StripedToBlockedOpEiEvPT3_j, .Lfunc_end13-_Z20warp_exchange_kernelILj256ELj32ELj32EN6common18StripedToBlockedOpEiEvPT3_j
                                        ; -- End function
	.section	.AMDGPU.csdata,"",@progbits
; Kernel info:
; codeLenInByte = 592
; NumSgprs: 11
; NumVgprs: 38
; NumAgprs: 0
; TotalNumVgprs: 38
; ScratchSize: 0
; MemoryBound: 0
; FloatMode: 240
; IeeeMode: 1
; LDSByteSize: 32768 bytes/workgroup (compile time only)
; SGPRBlocks: 1
; VGPRBlocks: 4
; NumSGPRsForWavesPerEU: 11
; NumVGPRsForWavesPerEU: 38
; AccumOffset: 40
; Occupancy: 2
; WaveLimiterHint : 0
; COMPUTE_PGM_RSRC2:SCRATCH_EN: 0
; COMPUTE_PGM_RSRC2:USER_SGPR: 6
; COMPUTE_PGM_RSRC2:TRAP_HANDLER: 0
; COMPUTE_PGM_RSRC2:TGID_X_EN: 1
; COMPUTE_PGM_RSRC2:TGID_Y_EN: 0
; COMPUTE_PGM_RSRC2:TGID_Z_EN: 0
; COMPUTE_PGM_RSRC2:TIDIG_COMP_CNT: 0
; COMPUTE_PGM_RSRC3_GFX90A:ACCUM_OFFSET: 9
; COMPUTE_PGM_RSRC3_GFX90A:TG_SPLIT: 0
	.section	.text._Z20warp_exchange_kernelILj256ELj1ELj16EN6common25BlockedToStripedShuffleOpEiEvPT3_j,"axG",@progbits,_Z20warp_exchange_kernelILj256ELj1ELj16EN6common25BlockedToStripedShuffleOpEiEvPT3_j,comdat
	.protected	_Z20warp_exchange_kernelILj256ELj1ELj16EN6common25BlockedToStripedShuffleOpEiEvPT3_j ; -- Begin function _Z20warp_exchange_kernelILj256ELj1ELj16EN6common25BlockedToStripedShuffleOpEiEvPT3_j
	.globl	_Z20warp_exchange_kernelILj256ELj1ELj16EN6common25BlockedToStripedShuffleOpEiEvPT3_j
	.p2align	8
	.type	_Z20warp_exchange_kernelILj256ELj1ELj16EN6common25BlockedToStripedShuffleOpEiEvPT3_j,@function
_Z20warp_exchange_kernelILj256ELj1ELj16EN6common25BlockedToStripedShuffleOpEiEvPT3_j: ; @_Z20warp_exchange_kernelILj256ELj1ELj16EN6common25BlockedToStripedShuffleOpEiEvPT3_j
; %bb.0:
	s_load_dword s0, s[4:5], 0x8
	s_waitcnt lgkmcnt(0)
	s_cmp_eq_u32 s0, 0
	s_cbranch_scc1 .LBB14_3
; %bb.1:
	v_mbcnt_lo_u32_b32 v1, -1, 0
	v_mbcnt_hi_u32_b32 v1, -1, v1
	v_lshlrev_b32_e32 v2, 2, v1
	v_mov_b32_e32 v1, v0
.LBB14_2:                               ; =>This Inner Loop Header: Depth=1
	s_waitcnt lgkmcnt(0)
	ds_bpermute_b32 v1, v2, v1
	s_add_i32 s0, s0, -1
	s_cmp_lg_u32 s0, 0
	; wave barrier
	s_cbranch_scc1 .LBB14_2
	s_branch .LBB14_4
.LBB14_3:
	v_mov_b32_e32 v1, v0
.LBB14_4:
	s_load_dwordx2 s[0:1], s[4:5], 0x0
	v_lshl_or_b32 v2, s6, 8, v0
	v_mov_b32_e32 v3, 0
	v_lshlrev_b64 v[2:3], 2, v[2:3]
	s_waitcnt lgkmcnt(0)
	v_mov_b32_e32 v0, s1
	v_add_co_u32_e32 v2, vcc, s0, v2
	v_addc_co_u32_e32 v3, vcc, v0, v3, vcc
	global_store_dword v[2:3], v1, off
	s_endpgm
	.section	.rodata,"a",@progbits
	.p2align	6, 0x0
	.amdhsa_kernel _Z20warp_exchange_kernelILj256ELj1ELj16EN6common25BlockedToStripedShuffleOpEiEvPT3_j
		.amdhsa_group_segment_fixed_size 0
		.amdhsa_private_segment_fixed_size 0
		.amdhsa_kernarg_size 12
		.amdhsa_user_sgpr_count 6
		.amdhsa_user_sgpr_private_segment_buffer 1
		.amdhsa_user_sgpr_dispatch_ptr 0
		.amdhsa_user_sgpr_queue_ptr 0
		.amdhsa_user_sgpr_kernarg_segment_ptr 1
		.amdhsa_user_sgpr_dispatch_id 0
		.amdhsa_user_sgpr_flat_scratch_init 0
		.amdhsa_user_sgpr_kernarg_preload_length 0
		.amdhsa_user_sgpr_kernarg_preload_offset 0
		.amdhsa_user_sgpr_private_segment_size 0
		.amdhsa_uses_dynamic_stack 0
		.amdhsa_system_sgpr_private_segment_wavefront_offset 0
		.amdhsa_system_sgpr_workgroup_id_x 1
		.amdhsa_system_sgpr_workgroup_id_y 0
		.amdhsa_system_sgpr_workgroup_id_z 0
		.amdhsa_system_sgpr_workgroup_info 0
		.amdhsa_system_vgpr_workitem_id 0
		.amdhsa_next_free_vgpr 4
		.amdhsa_next_free_sgpr 7
		.amdhsa_accum_offset 4
		.amdhsa_reserve_vcc 1
		.amdhsa_reserve_flat_scratch 0
		.amdhsa_float_round_mode_32 0
		.amdhsa_float_round_mode_16_64 0
		.amdhsa_float_denorm_mode_32 3
		.amdhsa_float_denorm_mode_16_64 3
		.amdhsa_dx10_clamp 1
		.amdhsa_ieee_mode 1
		.amdhsa_fp16_overflow 0
		.amdhsa_tg_split 0
		.amdhsa_exception_fp_ieee_invalid_op 0
		.amdhsa_exception_fp_denorm_src 0
		.amdhsa_exception_fp_ieee_div_zero 0
		.amdhsa_exception_fp_ieee_overflow 0
		.amdhsa_exception_fp_ieee_underflow 0
		.amdhsa_exception_fp_ieee_inexact 0
		.amdhsa_exception_int_div_zero 0
	.end_amdhsa_kernel
	.section	.text._Z20warp_exchange_kernelILj256ELj1ELj16EN6common25BlockedToStripedShuffleOpEiEvPT3_j,"axG",@progbits,_Z20warp_exchange_kernelILj256ELj1ELj16EN6common25BlockedToStripedShuffleOpEiEvPT3_j,comdat
.Lfunc_end14:
	.size	_Z20warp_exchange_kernelILj256ELj1ELj16EN6common25BlockedToStripedShuffleOpEiEvPT3_j, .Lfunc_end14-_Z20warp_exchange_kernelILj256ELj1ELj16EN6common25BlockedToStripedShuffleOpEiEvPT3_j
                                        ; -- End function
	.section	.AMDGPU.csdata,"",@progbits
; Kernel info:
; codeLenInByte = 132
; NumSgprs: 11
; NumVgprs: 4
; NumAgprs: 0
; TotalNumVgprs: 4
; ScratchSize: 0
; MemoryBound: 0
; FloatMode: 240
; IeeeMode: 1
; LDSByteSize: 0 bytes/workgroup (compile time only)
; SGPRBlocks: 1
; VGPRBlocks: 0
; NumSGPRsForWavesPerEU: 11
; NumVGPRsForWavesPerEU: 4
; AccumOffset: 4
; Occupancy: 8
; WaveLimiterHint : 0
; COMPUTE_PGM_RSRC2:SCRATCH_EN: 0
; COMPUTE_PGM_RSRC2:USER_SGPR: 6
; COMPUTE_PGM_RSRC2:TRAP_HANDLER: 0
; COMPUTE_PGM_RSRC2:TGID_X_EN: 1
; COMPUTE_PGM_RSRC2:TGID_Y_EN: 0
; COMPUTE_PGM_RSRC2:TGID_Z_EN: 0
; COMPUTE_PGM_RSRC2:TIDIG_COMP_CNT: 0
; COMPUTE_PGM_RSRC3_GFX90A:ACCUM_OFFSET: 0
; COMPUTE_PGM_RSRC3_GFX90A:TG_SPLIT: 0
	.section	.text._Z20warp_exchange_kernelILj256ELj1ELj32EN6common25BlockedToStripedShuffleOpEiEvPT3_j,"axG",@progbits,_Z20warp_exchange_kernelILj256ELj1ELj32EN6common25BlockedToStripedShuffleOpEiEvPT3_j,comdat
	.protected	_Z20warp_exchange_kernelILj256ELj1ELj32EN6common25BlockedToStripedShuffleOpEiEvPT3_j ; -- Begin function _Z20warp_exchange_kernelILj256ELj1ELj32EN6common25BlockedToStripedShuffleOpEiEvPT3_j
	.globl	_Z20warp_exchange_kernelILj256ELj1ELj32EN6common25BlockedToStripedShuffleOpEiEvPT3_j
	.p2align	8
	.type	_Z20warp_exchange_kernelILj256ELj1ELj32EN6common25BlockedToStripedShuffleOpEiEvPT3_j,@function
_Z20warp_exchange_kernelILj256ELj1ELj32EN6common25BlockedToStripedShuffleOpEiEvPT3_j: ; @_Z20warp_exchange_kernelILj256ELj1ELj32EN6common25BlockedToStripedShuffleOpEiEvPT3_j
; %bb.0:
	s_load_dword s0, s[4:5], 0x8
	s_waitcnt lgkmcnt(0)
	s_cmp_eq_u32 s0, 0
	s_cbranch_scc1 .LBB15_3
; %bb.1:
	v_mbcnt_lo_u32_b32 v1, -1, 0
	v_mbcnt_hi_u32_b32 v1, -1, v1
	v_lshlrev_b32_e32 v2, 2, v1
	v_mov_b32_e32 v1, v0
.LBB15_2:                               ; =>This Inner Loop Header: Depth=1
	s_waitcnt lgkmcnt(0)
	ds_bpermute_b32 v1, v2, v1
	s_add_i32 s0, s0, -1
	s_cmp_lg_u32 s0, 0
	; wave barrier
	s_cbranch_scc1 .LBB15_2
	s_branch .LBB15_4
.LBB15_3:
	v_mov_b32_e32 v1, v0
.LBB15_4:
	s_load_dwordx2 s[0:1], s[4:5], 0x0
	v_lshl_or_b32 v2, s6, 8, v0
	v_mov_b32_e32 v3, 0
	v_lshlrev_b64 v[2:3], 2, v[2:3]
	s_waitcnt lgkmcnt(0)
	v_mov_b32_e32 v0, s1
	v_add_co_u32_e32 v2, vcc, s0, v2
	v_addc_co_u32_e32 v3, vcc, v0, v3, vcc
	global_store_dword v[2:3], v1, off
	s_endpgm
	.section	.rodata,"a",@progbits
	.p2align	6, 0x0
	.amdhsa_kernel _Z20warp_exchange_kernelILj256ELj1ELj32EN6common25BlockedToStripedShuffleOpEiEvPT3_j
		.amdhsa_group_segment_fixed_size 0
		.amdhsa_private_segment_fixed_size 0
		.amdhsa_kernarg_size 12
		.amdhsa_user_sgpr_count 6
		.amdhsa_user_sgpr_private_segment_buffer 1
		.amdhsa_user_sgpr_dispatch_ptr 0
		.amdhsa_user_sgpr_queue_ptr 0
		.amdhsa_user_sgpr_kernarg_segment_ptr 1
		.amdhsa_user_sgpr_dispatch_id 0
		.amdhsa_user_sgpr_flat_scratch_init 0
		.amdhsa_user_sgpr_kernarg_preload_length 0
		.amdhsa_user_sgpr_kernarg_preload_offset 0
		.amdhsa_user_sgpr_private_segment_size 0
		.amdhsa_uses_dynamic_stack 0
		.amdhsa_system_sgpr_private_segment_wavefront_offset 0
		.amdhsa_system_sgpr_workgroup_id_x 1
		.amdhsa_system_sgpr_workgroup_id_y 0
		.amdhsa_system_sgpr_workgroup_id_z 0
		.amdhsa_system_sgpr_workgroup_info 0
		.amdhsa_system_vgpr_workitem_id 0
		.amdhsa_next_free_vgpr 4
		.amdhsa_next_free_sgpr 7
		.amdhsa_accum_offset 4
		.amdhsa_reserve_vcc 1
		.amdhsa_reserve_flat_scratch 0
		.amdhsa_float_round_mode_32 0
		.amdhsa_float_round_mode_16_64 0
		.amdhsa_float_denorm_mode_32 3
		.amdhsa_float_denorm_mode_16_64 3
		.amdhsa_dx10_clamp 1
		.amdhsa_ieee_mode 1
		.amdhsa_fp16_overflow 0
		.amdhsa_tg_split 0
		.amdhsa_exception_fp_ieee_invalid_op 0
		.amdhsa_exception_fp_denorm_src 0
		.amdhsa_exception_fp_ieee_div_zero 0
		.amdhsa_exception_fp_ieee_overflow 0
		.amdhsa_exception_fp_ieee_underflow 0
		.amdhsa_exception_fp_ieee_inexact 0
		.amdhsa_exception_int_div_zero 0
	.end_amdhsa_kernel
	.section	.text._Z20warp_exchange_kernelILj256ELj1ELj32EN6common25BlockedToStripedShuffleOpEiEvPT3_j,"axG",@progbits,_Z20warp_exchange_kernelILj256ELj1ELj32EN6common25BlockedToStripedShuffleOpEiEvPT3_j,comdat
.Lfunc_end15:
	.size	_Z20warp_exchange_kernelILj256ELj1ELj32EN6common25BlockedToStripedShuffleOpEiEvPT3_j, .Lfunc_end15-_Z20warp_exchange_kernelILj256ELj1ELj32EN6common25BlockedToStripedShuffleOpEiEvPT3_j
                                        ; -- End function
	.section	.AMDGPU.csdata,"",@progbits
; Kernel info:
; codeLenInByte = 132
; NumSgprs: 11
; NumVgprs: 4
; NumAgprs: 0
; TotalNumVgprs: 4
; ScratchSize: 0
; MemoryBound: 0
; FloatMode: 240
; IeeeMode: 1
; LDSByteSize: 0 bytes/workgroup (compile time only)
; SGPRBlocks: 1
; VGPRBlocks: 0
; NumSGPRsForWavesPerEU: 11
; NumVGPRsForWavesPerEU: 4
; AccumOffset: 4
; Occupancy: 8
; WaveLimiterHint : 0
; COMPUTE_PGM_RSRC2:SCRATCH_EN: 0
; COMPUTE_PGM_RSRC2:USER_SGPR: 6
; COMPUTE_PGM_RSRC2:TRAP_HANDLER: 0
; COMPUTE_PGM_RSRC2:TGID_X_EN: 1
; COMPUTE_PGM_RSRC2:TGID_Y_EN: 0
; COMPUTE_PGM_RSRC2:TGID_Z_EN: 0
; COMPUTE_PGM_RSRC2:TIDIG_COMP_CNT: 0
; COMPUTE_PGM_RSRC3_GFX90A:ACCUM_OFFSET: 0
; COMPUTE_PGM_RSRC3_GFX90A:TG_SPLIT: 0
	.section	.text._Z20warp_exchange_kernelILj256ELj4ELj16EN6common25BlockedToStripedShuffleOpEiEvPT3_j,"axG",@progbits,_Z20warp_exchange_kernelILj256ELj4ELj16EN6common25BlockedToStripedShuffleOpEiEvPT3_j,comdat
	.protected	_Z20warp_exchange_kernelILj256ELj4ELj16EN6common25BlockedToStripedShuffleOpEiEvPT3_j ; -- Begin function _Z20warp_exchange_kernelILj256ELj4ELj16EN6common25BlockedToStripedShuffleOpEiEvPT3_j
	.globl	_Z20warp_exchange_kernelILj256ELj4ELj16EN6common25BlockedToStripedShuffleOpEiEvPT3_j
	.p2align	8
	.type	_Z20warp_exchange_kernelILj256ELj4ELj16EN6common25BlockedToStripedShuffleOpEiEvPT3_j,@function
_Z20warp_exchange_kernelILj256ELj4ELj16EN6common25BlockedToStripedShuffleOpEiEvPT3_j: ; @_Z20warp_exchange_kernelILj256ELj4ELj16EN6common25BlockedToStripedShuffleOpEiEvPT3_j
; %bb.0:
	s_load_dword s7, s[4:5], 0x8
	v_lshlrev_b32_e32 v0, 2, v0
	v_or_b32_e32 v1, 1, v0
	v_or_b32_e32 v2, 2, v0
	v_or_b32_e32 v3, 3, v0
	s_waitcnt lgkmcnt(0)
	s_cmp_eq_u32 s7, 0
	s_cbranch_scc1 .LBB16_4
; %bb.1:
	v_mbcnt_lo_u32_b32 v4, -1, 0
	v_mbcnt_hi_u32_b32 v9, -1, v4
	v_and_b32_e32 v4, 3, v9
	v_add_u32_e32 v5, -1, v9
	v_xor_b32_e32 v10, 2, v4
	v_and_b32_e32 v8, 3, v5
	v_add_u32_e32 v5, -1, v10
	v_and_b32_e32 v12, 3, v5
	v_and_b32_e32 v7, 0x70, v9
	v_add_u32_e32 v5, 12, v9
	v_add_u32_e32 v11, 4, v9
	v_and_or_b32 v5, v5, 15, v7
	v_and_or_b32 v7, v11, 15, v7
	v_lshrrev_b32_e32 v11, 2, v9
	v_bfe_u32 v14, v9, 2, 2
	v_lshlrev_b32_e32 v6, 2, v9
	v_add_u32_e32 v9, -1, v11
	v_xor_b32_e32 v18, 2, v14
	v_and_b32_e32 v16, 3, v9
	v_add_u32_e32 v9, -1, v18
	v_and_b32_e32 v20, 3, v9
	v_lshlrev_b32_e32 v5, 2, v5
	v_xor_b32_e32 v6, 32, v6
	v_lshlrev_b32_e32 v7, 2, v7
	v_cmp_eq_u32_e32 vcc, 1, v8
	v_cmp_eq_u32_e64 s[0:1], 2, v8
	v_cmp_eq_u32_e64 s[2:3], 3, v8
	;; [unrolled: 1-line block ×23, first 2 shown]
	v_mov_b32_e32 v4, v0
.LBB16_2:                               ; =>This Inner Loop Header: Depth=1
	s_waitcnt lgkmcnt(2)
	v_mov_b32_dpp v1, v1 quad_perm:[3,0,1,2] row_mask:0xf bank_mask:0xf
	s_waitcnt lgkmcnt(1)
	v_mov_b32_dpp v2, v2 quad_perm:[2,3,0,1] row_mask:0xf bank_mask:0xf
	v_cndmask_b32_e32 v8, v4, v1, vcc
	s_waitcnt lgkmcnt(0)
	v_mov_b32_dpp v3, v3 quad_perm:[1,2,3,0] row_mask:0xf bank_mask:0xf
	v_cndmask_b32_e64 v8, v8, v2, s[0:1]
	v_cndmask_b32_e64 v9, v4, v1, s[50:51]
	;; [unrolled: 1-line block ×7, first 2 shown]
	v_mov_b32_dpp v8, v8 quad_perm:[1,2,3,0] row_mask:0xf bank_mask:0xf
	v_cndmask_b32_e64 v10, v10, v3, s[16:17]
	v_mov_b32_dpp v9, v9 quad_perm:[2,3,0,1] row_mask:0xf bank_mask:0xf
	ds_bpermute_b32 v8, v5, v8
	v_mov_b32_dpp v10, v10 quad_perm:[3,0,1,2] row_mask:0xf bank_mask:0xf
	ds_bpermute_b32 v9, v6, v9
	v_cndmask_b32_e64 v1, v4, v1, s[18:19]
	ds_bpermute_b32 v10, v7, v10
	v_cndmask_b32_e64 v1, v1, v2, s[20:21]
	v_cndmask_b32_e64 v1, v1, v3, s[22:23]
	s_waitcnt lgkmcnt(2)
	v_cndmask_b32_e64 v2, v1, v8, s[24:25]
	s_waitcnt lgkmcnt(1)
	v_cndmask_b32_e64 v2, v2, v9, s[26:27]
	s_waitcnt lgkmcnt(0)
	v_cndmask_b32_e64 v4, v2, v10, s[28:29]
	v_cndmask_b32_e64 v2, v1, v8, s[30:31]
	;; [unrolled: 1-line block ×10, first 2 shown]
	ds_bpermute_b32 v1, v7, v2
	ds_bpermute_b32 v2, v6, v3
	;; [unrolled: 1-line block ×3, first 2 shown]
	s_add_i32 s7, s7, -1
	s_cmp_lg_u32 s7, 0
	; wave barrier
	s_cbranch_scc1 .LBB16_2
; %bb.3:
	s_waitcnt lgkmcnt(2)
	v_mov_b32_e32 v5, v1
	s_waitcnt lgkmcnt(1)
	v_mov_b32_e32 v6, v2
	;; [unrolled: 2-line block ×3, first 2 shown]
	s_branch .LBB16_5
.LBB16_4:
	v_pk_mov_b32 v[6:7], v[2:3], v[2:3] op_sel:[0,1]
	v_pk_mov_b32 v[4:5], v[0:1], v[0:1] op_sel:[0,1]
.LBB16_5:
	s_load_dwordx2 s[0:1], s[4:5], 0x0
	v_lshl_or_b32 v0, s6, 10, v0
	v_mov_b32_e32 v1, 0
	v_lshlrev_b64 v[0:1], 2, v[0:1]
	s_waitcnt lgkmcnt(0)
	v_mov_b32_e32 v2, s1
	v_add_co_u32_e32 v0, vcc, s0, v0
	v_addc_co_u32_e32 v1, vcc, v2, v1, vcc
	global_store_dwordx4 v[0:1], v[4:7], off
	s_endpgm
	.section	.rodata,"a",@progbits
	.p2align	6, 0x0
	.amdhsa_kernel _Z20warp_exchange_kernelILj256ELj4ELj16EN6common25BlockedToStripedShuffleOpEiEvPT3_j
		.amdhsa_group_segment_fixed_size 0
		.amdhsa_private_segment_fixed_size 0
		.amdhsa_kernarg_size 12
		.amdhsa_user_sgpr_count 6
		.amdhsa_user_sgpr_private_segment_buffer 1
		.amdhsa_user_sgpr_dispatch_ptr 0
		.amdhsa_user_sgpr_queue_ptr 0
		.amdhsa_user_sgpr_kernarg_segment_ptr 1
		.amdhsa_user_sgpr_dispatch_id 0
		.amdhsa_user_sgpr_flat_scratch_init 0
		.amdhsa_user_sgpr_kernarg_preload_length 0
		.amdhsa_user_sgpr_kernarg_preload_offset 0
		.amdhsa_user_sgpr_private_segment_size 0
		.amdhsa_uses_dynamic_stack 0
		.amdhsa_system_sgpr_private_segment_wavefront_offset 0
		.amdhsa_system_sgpr_workgroup_id_x 1
		.amdhsa_system_sgpr_workgroup_id_y 0
		.amdhsa_system_sgpr_workgroup_id_z 0
		.amdhsa_system_sgpr_workgroup_info 0
		.amdhsa_system_vgpr_workitem_id 0
		.amdhsa_next_free_vgpr 21
		.amdhsa_next_free_sgpr 52
		.amdhsa_accum_offset 24
		.amdhsa_reserve_vcc 1
		.amdhsa_reserve_flat_scratch 0
		.amdhsa_float_round_mode_32 0
		.amdhsa_float_round_mode_16_64 0
		.amdhsa_float_denorm_mode_32 3
		.amdhsa_float_denorm_mode_16_64 3
		.amdhsa_dx10_clamp 1
		.amdhsa_ieee_mode 1
		.amdhsa_fp16_overflow 0
		.amdhsa_tg_split 0
		.amdhsa_exception_fp_ieee_invalid_op 0
		.amdhsa_exception_fp_denorm_src 0
		.amdhsa_exception_fp_ieee_div_zero 0
		.amdhsa_exception_fp_ieee_overflow 0
		.amdhsa_exception_fp_ieee_underflow 0
		.amdhsa_exception_fp_ieee_inexact 0
		.amdhsa_exception_int_div_zero 0
	.end_amdhsa_kernel
	.section	.text._Z20warp_exchange_kernelILj256ELj4ELj16EN6common25BlockedToStripedShuffleOpEiEvPT3_j,"axG",@progbits,_Z20warp_exchange_kernelILj256ELj4ELj16EN6common25BlockedToStripedShuffleOpEiEvPT3_j,comdat
.Lfunc_end16:
	.size	_Z20warp_exchange_kernelILj256ELj4ELj16EN6common25BlockedToStripedShuffleOpEiEvPT3_j, .Lfunc_end16-_Z20warp_exchange_kernelILj256ELj4ELj16EN6common25BlockedToStripedShuffleOpEiEvPT3_j
                                        ; -- End function
	.section	.AMDGPU.csdata,"",@progbits
; Kernel info:
; codeLenInByte = 768
; NumSgprs: 56
; NumVgprs: 21
; NumAgprs: 0
; TotalNumVgprs: 21
; ScratchSize: 0
; MemoryBound: 0
; FloatMode: 240
; IeeeMode: 1
; LDSByteSize: 0 bytes/workgroup (compile time only)
; SGPRBlocks: 6
; VGPRBlocks: 2
; NumSGPRsForWavesPerEU: 56
; NumVGPRsForWavesPerEU: 21
; AccumOffset: 24
; Occupancy: 8
; WaveLimiterHint : 0
; COMPUTE_PGM_RSRC2:SCRATCH_EN: 0
; COMPUTE_PGM_RSRC2:USER_SGPR: 6
; COMPUTE_PGM_RSRC2:TRAP_HANDLER: 0
; COMPUTE_PGM_RSRC2:TGID_X_EN: 1
; COMPUTE_PGM_RSRC2:TGID_Y_EN: 0
; COMPUTE_PGM_RSRC2:TGID_Z_EN: 0
; COMPUTE_PGM_RSRC2:TIDIG_COMP_CNT: 0
; COMPUTE_PGM_RSRC3_GFX90A:ACCUM_OFFSET: 5
; COMPUTE_PGM_RSRC3_GFX90A:TG_SPLIT: 0
	.section	.text._Z20warp_exchange_kernelILj256ELj4ELj32EN6common25BlockedToStripedShuffleOpEiEvPT3_j,"axG",@progbits,_Z20warp_exchange_kernelILj256ELj4ELj32EN6common25BlockedToStripedShuffleOpEiEvPT3_j,comdat
	.protected	_Z20warp_exchange_kernelILj256ELj4ELj32EN6common25BlockedToStripedShuffleOpEiEvPT3_j ; -- Begin function _Z20warp_exchange_kernelILj256ELj4ELj32EN6common25BlockedToStripedShuffleOpEiEvPT3_j
	.globl	_Z20warp_exchange_kernelILj256ELj4ELj32EN6common25BlockedToStripedShuffleOpEiEvPT3_j
	.p2align	8
	.type	_Z20warp_exchange_kernelILj256ELj4ELj32EN6common25BlockedToStripedShuffleOpEiEvPT3_j,@function
_Z20warp_exchange_kernelILj256ELj4ELj32EN6common25BlockedToStripedShuffleOpEiEvPT3_j: ; @_Z20warp_exchange_kernelILj256ELj4ELj32EN6common25BlockedToStripedShuffleOpEiEvPT3_j
; %bb.0:
	s_load_dword s7, s[4:5], 0x8
	v_lshlrev_b32_e32 v0, 2, v0
	v_or_b32_e32 v1, 1, v0
	v_or_b32_e32 v2, 2, v0
	;; [unrolled: 1-line block ×3, first 2 shown]
	s_waitcnt lgkmcnt(0)
	s_cmp_eq_u32 s7, 0
	s_cbranch_scc1 .LBB17_4
; %bb.1:
	v_mbcnt_lo_u32_b32 v4, -1, 0
	v_mbcnt_hi_u32_b32 v4, -1, v4
	v_and_b32_e32 v5, 3, v4
	v_cmp_eq_u32_e32 vcc, 3, v5
	v_cmp_eq_u32_e64 s[0:1], 2, v5
	v_cmp_eq_u32_e64 s[2:3], 1, v5
	v_lshlrev_b32_e32 v5, 2, v4
	v_and_b32_e32 v4, 28, v4
	s_movk_i32 s8, 0x180
	v_and_or_b32 v5, v5, s8, v4
	v_or_b32_e32 v6, 32, v5
	v_or_b32_e32 v7, 64, v5
	;; [unrolled: 1-line block ×3, first 2 shown]
	v_mov_b32_e32 v4, v0
.LBB17_2:                               ; =>This Inner Loop Header: Depth=1
	v_mov_b32_e32 v9, v1
	v_mov_b32_e32 v10, v4
	ds_bpermute_b32 v1, v5, v4
	ds_bpermute_b32 v4, v5, v9
	;; [unrolled: 1-line block ×6, first 2 shown]
	s_waitcnt lgkmcnt(4)
	v_cndmask_b32_e64 v1, v1, v4, s[2:3]
	s_waitcnt lgkmcnt(3)
	v_cndmask_b32_e64 v1, v1, v11, s[0:1]
	ds_bpermute_b32 v4, v5, v3
	ds_bpermute_b32 v11, v6, v10
	;; [unrolled: 1-line block ×5, first 2 shown]
	s_waitcnt lgkmcnt(4)
	v_cndmask_b32_e32 v4, v1, v4, vcc
	s_waitcnt lgkmcnt(3)
	v_cndmask_b32_e64 v1, v11, v12, s[2:3]
	v_cndmask_b32_e64 v1, v1, v13, s[0:1]
	ds_bpermute_b32 v9, v8, v9
	v_cndmask_b32_e32 v1, v1, v14, vcc
	ds_bpermute_b32 v12, v7, v2
	ds_bpermute_b32 v14, v8, v2
	;; [unrolled: 1-line block ×4, first 2 shown]
	s_waitcnt lgkmcnt(6)
	v_cndmask_b32_e64 v11, v15, v16, s[2:3]
	s_waitcnt lgkmcnt(4)
	v_cndmask_b32_e64 v9, v10, v9, s[2:3]
	s_waitcnt lgkmcnt(3)
	v_cndmask_b32_e64 v2, v11, v12, s[0:1]
	s_waitcnt lgkmcnt(2)
	v_cndmask_b32_e64 v9, v9, v14, s[0:1]
	s_add_i32 s7, s7, -1
	s_waitcnt lgkmcnt(1)
	v_cndmask_b32_e32 v2, v2, v13, vcc
	s_waitcnt lgkmcnt(0)
	v_cndmask_b32_e32 v3, v9, v3, vcc
	s_cmp_lg_u32 s7, 0
	; wave barrier
	s_cbranch_scc1 .LBB17_2
; %bb.3:
	v_mov_b32_e32 v5, v1
	v_mov_b32_e32 v6, v2
	;; [unrolled: 1-line block ×3, first 2 shown]
	s_branch .LBB17_5
.LBB17_4:
	v_pk_mov_b32 v[6:7], v[2:3], v[2:3] op_sel:[0,1]
	v_pk_mov_b32 v[4:5], v[0:1], v[0:1] op_sel:[0,1]
.LBB17_5:
	s_load_dwordx2 s[0:1], s[4:5], 0x0
	v_lshl_or_b32 v0, s6, 10, v0
	v_mov_b32_e32 v1, 0
	v_lshlrev_b64 v[0:1], 2, v[0:1]
	s_waitcnt lgkmcnt(0)
	v_mov_b32_e32 v2, s1
	v_add_co_u32_e32 v0, vcc, s0, v0
	v_addc_co_u32_e32 v1, vcc, v2, v1, vcc
	global_store_dwordx4 v[0:1], v[4:7], off
	s_endpgm
	.section	.rodata,"a",@progbits
	.p2align	6, 0x0
	.amdhsa_kernel _Z20warp_exchange_kernelILj256ELj4ELj32EN6common25BlockedToStripedShuffleOpEiEvPT3_j
		.amdhsa_group_segment_fixed_size 0
		.amdhsa_private_segment_fixed_size 0
		.amdhsa_kernarg_size 12
		.amdhsa_user_sgpr_count 6
		.amdhsa_user_sgpr_private_segment_buffer 1
		.amdhsa_user_sgpr_dispatch_ptr 0
		.amdhsa_user_sgpr_queue_ptr 0
		.amdhsa_user_sgpr_kernarg_segment_ptr 1
		.amdhsa_user_sgpr_dispatch_id 0
		.amdhsa_user_sgpr_flat_scratch_init 0
		.amdhsa_user_sgpr_kernarg_preload_length 0
		.amdhsa_user_sgpr_kernarg_preload_offset 0
		.amdhsa_user_sgpr_private_segment_size 0
		.amdhsa_uses_dynamic_stack 0
		.amdhsa_system_sgpr_private_segment_wavefront_offset 0
		.amdhsa_system_sgpr_workgroup_id_x 1
		.amdhsa_system_sgpr_workgroup_id_y 0
		.amdhsa_system_sgpr_workgroup_id_z 0
		.amdhsa_system_sgpr_workgroup_info 0
		.amdhsa_system_vgpr_workitem_id 0
		.amdhsa_next_free_vgpr 17
		.amdhsa_next_free_sgpr 9
		.amdhsa_accum_offset 20
		.amdhsa_reserve_vcc 1
		.amdhsa_reserve_flat_scratch 0
		.amdhsa_float_round_mode_32 0
		.amdhsa_float_round_mode_16_64 0
		.amdhsa_float_denorm_mode_32 3
		.amdhsa_float_denorm_mode_16_64 3
		.amdhsa_dx10_clamp 1
		.amdhsa_ieee_mode 1
		.amdhsa_fp16_overflow 0
		.amdhsa_tg_split 0
		.amdhsa_exception_fp_ieee_invalid_op 0
		.amdhsa_exception_fp_denorm_src 0
		.amdhsa_exception_fp_ieee_div_zero 0
		.amdhsa_exception_fp_ieee_overflow 0
		.amdhsa_exception_fp_ieee_underflow 0
		.amdhsa_exception_fp_ieee_inexact 0
		.amdhsa_exception_int_div_zero 0
	.end_amdhsa_kernel
	.section	.text._Z20warp_exchange_kernelILj256ELj4ELj32EN6common25BlockedToStripedShuffleOpEiEvPT3_j,"axG",@progbits,_Z20warp_exchange_kernelILj256ELj4ELj32EN6common25BlockedToStripedShuffleOpEiEvPT3_j,comdat
.Lfunc_end17:
	.size	_Z20warp_exchange_kernelILj256ELj4ELj32EN6common25BlockedToStripedShuffleOpEiEvPT3_j, .Lfunc_end17-_Z20warp_exchange_kernelILj256ELj4ELj32EN6common25BlockedToStripedShuffleOpEiEvPT3_j
                                        ; -- End function
	.section	.AMDGPU.csdata,"",@progbits
; Kernel info:
; codeLenInByte = 472
; NumSgprs: 13
; NumVgprs: 17
; NumAgprs: 0
; TotalNumVgprs: 17
; ScratchSize: 0
; MemoryBound: 0
; FloatMode: 240
; IeeeMode: 1
; LDSByteSize: 0 bytes/workgroup (compile time only)
; SGPRBlocks: 1
; VGPRBlocks: 2
; NumSGPRsForWavesPerEU: 13
; NumVGPRsForWavesPerEU: 17
; AccumOffset: 20
; Occupancy: 8
; WaveLimiterHint : 0
; COMPUTE_PGM_RSRC2:SCRATCH_EN: 0
; COMPUTE_PGM_RSRC2:USER_SGPR: 6
; COMPUTE_PGM_RSRC2:TRAP_HANDLER: 0
; COMPUTE_PGM_RSRC2:TGID_X_EN: 1
; COMPUTE_PGM_RSRC2:TGID_Y_EN: 0
; COMPUTE_PGM_RSRC2:TGID_Z_EN: 0
; COMPUTE_PGM_RSRC2:TIDIG_COMP_CNT: 0
; COMPUTE_PGM_RSRC3_GFX90A:ACCUM_OFFSET: 4
; COMPUTE_PGM_RSRC3_GFX90A:TG_SPLIT: 0
	.section	.text._Z20warp_exchange_kernelILj256ELj16ELj16EN6common25BlockedToStripedShuffleOpEiEvPT3_j,"axG",@progbits,_Z20warp_exchange_kernelILj256ELj16ELj16EN6common25BlockedToStripedShuffleOpEiEvPT3_j,comdat
	.protected	_Z20warp_exchange_kernelILj256ELj16ELj16EN6common25BlockedToStripedShuffleOpEiEvPT3_j ; -- Begin function _Z20warp_exchange_kernelILj256ELj16ELj16EN6common25BlockedToStripedShuffleOpEiEvPT3_j
	.globl	_Z20warp_exchange_kernelILj256ELj16ELj16EN6common25BlockedToStripedShuffleOpEiEvPT3_j
	.p2align	8
	.type	_Z20warp_exchange_kernelILj256ELj16ELj16EN6common25BlockedToStripedShuffleOpEiEvPT3_j,@function
_Z20warp_exchange_kernelILj256ELj16ELj16EN6common25BlockedToStripedShuffleOpEiEvPT3_j: ; @_Z20warp_exchange_kernelILj256ELj16ELj16EN6common25BlockedToStripedShuffleOpEiEvPT3_j
; %bb.0:
	s_load_dword s6, s[4:5], 0x8
	s_add_u32 s0, s0, s9
	s_addc_u32 s1, s1, 0
	v_lshlrev_b32_e32 v16, 4, v0
	v_or_b32_e32 v17, 1, v16
	v_or_b32_e32 v7, 3, v16
	;; [unrolled: 1-line block ×14, first 2 shown]
	s_waitcnt lgkmcnt(0)
	s_cmp_eq_u32 s6, 0
	v_or_b32_e32 v2, 14, v16
	s_cbranch_scc1 .LBB18_4
; %bb.1:
	v_mbcnt_lo_u32_b32 v4, -1, 0
	v_mbcnt_hi_u32_b32 v4, -1, v4
	v_and_b32_e32 v5, 8, v4
	v_lshlrev_b32_e32 v18, 2, v5
	v_cmp_eq_u32_e32 vcc, 0, v5
	v_and_b32_e32 v5, 4, v4
	v_cndmask_b32_e64 v19, 4, 36, vcc
	v_cndmask_b32_e64 v20, 8, 40, vcc
	;; [unrolled: 1-line block ×7, first 2 shown]
	v_lshlrev_b32_e32 v26, 2, v5
	v_cmp_eq_u32_e32 vcc, 0, v5
	v_and_b32_e32 v5, 2, v4
	v_cndmask_b32_e64 v27, 4, 20, vcc
	v_cndmask_b32_e64 v28, 8, 24, vcc
	;; [unrolled: 1-line block ×7, first 2 shown]
	v_cmp_eq_u32_e32 vcc, 0, v5
	v_and_b32_e32 v4, 1, v4
	v_lshlrev_b32_e32 v34, 2, v5
	v_cndmask_b32_e64 v35, 4, 12, vcc
	v_cndmask_b32_e64 v36, 16, 24, vcc
	v_cndmask_b32_e64 v37, 20, 28, vcc
	v_cndmask_b32_e64 v38, 32, 40, vcc
	v_cndmask_b32_e64 v39, 36, 44, vcc
	v_cndmask_b32_e64 v40, 48, 56, vcc
	v_cndmask_b32_e64 v41, 52, 60, vcc
	v_lshlrev_b32_e32 v5, 2, v4
	v_cmp_eq_u32_e32 vcc, 0, v4
	v_xor_b32_e32 v18, 32, v18
	v_xor_b32_e32 v26, 16, v26
	;; [unrolled: 1-line block ×4, first 2 shown]
	v_cndmask_b32_e64 v4, 8, 12, vcc
	v_cndmask_b32_e64 v43, 16, 20, vcc
	;; [unrolled: 1-line block ×7, first 2 shown]
	v_add_u32_e32 v5, 0, v18
	v_add_u32_e32 v18, 0, v19
	;; [unrolled: 1-line block ×16, first 2 shown]
	v_or_b32_e32 v33, 0, v34
	v_or_b32_e32 v34, 0, v35
	v_add_u32_e32 v35, 0, v36
	v_add_u32_e32 v36, 0, v37
	;; [unrolled: 1-line block ×6, first 2 shown]
	v_or_b32_e32 v41, 0, v42
	v_or_b32_e32 v42, 0, v4
	v_add_u32_e32 v43, 0, v43
	v_add_u32_e32 v44, 0, v44
	;; [unrolled: 1-line block ×6, first 2 shown]
	v_mov_b32_e32 v4, v16
.LBB18_2:                               ; =>This Inner Loop Header: Depth=1
	s_waitcnt vmcnt(22)
	buffer_store_dword v4, off, s[0:3], 0
	s_waitcnt vmcnt(22)
	buffer_store_dword v17, off, s[0:3], 0 offset:4
	s_waitcnt vmcnt(20)
	buffer_store_dword v7, off, s[0:3], 0 offset:12
	buffer_store_dword v6, off, s[0:3], 0 offset:8
	s_waitcnt vmcnt(20)
	buffer_store_dword v8, off, s[0:3], 0 offset:16
	s_waitcnt vmcnt(20)
	;; [unrolled: 2-line block ×3, first 2 shown]
	buffer_store_dword v11, off, s[0:3], 0 offset:28
	buffer_store_dword v10, off, s[0:3], 0 offset:24
	s_waitcnt vmcnt(17)
	buffer_store_dword v12, off, s[0:3], 0 offset:32
	s_waitcnt vmcnt(17)
	buffer_store_dword v13, off, s[0:3], 0 offset:36
	buffer_load_dword v4, v5, s[0:3], 0 offen
	s_add_i32 s6, s6, -1
	s_cmp_lg_u32 s6, 0
	s_waitcnt vmcnt(0)
	ds_swizzle_b32 v4, v4 offset:swizzle(SWAP,8)
	s_waitcnt lgkmcnt(0)
	buffer_store_dword v4, v5, s[0:3], 0 offen
	buffer_load_dword v4, v18, s[0:3], 0 offen
	s_nop 0
	buffer_store_dword v14, off, s[0:3], 0 offset:40
	buffer_store_dword v15, off, s[0:3], 0 offset:44
	s_waitcnt vmcnt(2)
	ds_swizzle_b32 v4, v4 offset:swizzle(SWAP,8)
	s_waitcnt lgkmcnt(0)
	buffer_store_dword v4, v18, s[0:3], 0 offen
	buffer_load_dword v4, v19, s[0:3], 0 offen
	s_waitcnt vmcnt(0)
	ds_swizzle_b32 v4, v4 offset:swizzle(SWAP,8)
	s_waitcnt lgkmcnt(0)
	buffer_store_dword v4, v19, s[0:3], 0 offen
	buffer_load_dword v4, v20, s[0:3], 0 offen
	s_nop 0
	buffer_store_dword v0, off, s[0:3], 0 offset:48
	buffer_store_dword v1, off, s[0:3], 0 offset:52
	s_waitcnt vmcnt(2)
	ds_swizzle_b32 v0, v4 offset:swizzle(SWAP,8)
	s_waitcnt lgkmcnt(0)
	buffer_store_dword v0, v20, s[0:3], 0 offen
	buffer_load_dword v0, v21, s[0:3], 0 offen
	s_waitcnt vmcnt(0)
	ds_swizzle_b32 v0, v0 offset:swizzle(SWAP,8)
	s_waitcnt lgkmcnt(0)
	buffer_store_dword v0, v21, s[0:3], 0 offen
	buffer_load_dword v0, v22, s[0:3], 0 offen
	s_nop 0
	buffer_load_dword v1, v25, s[0:3], 0 offen
	s_nop 0
	buffer_store_dword v2, off, s[0:3], 0 offset:56
	buffer_store_dword v3, off, s[0:3], 0 offset:60
	s_waitcnt vmcnt(3)
	ds_swizzle_b32 v0, v0 offset:swizzle(SWAP,8)
	s_waitcnt vmcnt(2)
	ds_swizzle_b32 v1, v1 offset:swizzle(SWAP,4)
	s_waitcnt lgkmcnt(1)
	buffer_store_dword v0, v22, s[0:3], 0 offen
	s_waitcnt lgkmcnt(0)
	buffer_store_dword v1, v25, s[0:3], 0 offen
	buffer_load_dword v0, v23, s[0:3], 0 offen
	s_nop 0
	buffer_load_dword v1, v26, s[0:3], 0 offen
	s_waitcnt vmcnt(1)
	ds_swizzle_b32 v0, v0 offset:swizzle(SWAP,8)
	s_waitcnt vmcnt(0)
	ds_swizzle_b32 v1, v1 offset:swizzle(SWAP,4)
	s_waitcnt lgkmcnt(1)
	buffer_store_dword v0, v23, s[0:3], 0 offen
	s_waitcnt lgkmcnt(0)
	buffer_store_dword v1, v26, s[0:3], 0 offen
	buffer_load_dword v0, v24, s[0:3], 0 offen
	s_nop 0
	buffer_load_dword v1, v27, s[0:3], 0 offen
	;; [unrolled: 11-line block ×3, first 2 shown]
	buffer_load_dword v2, v33, s[0:3], 0 offen
	s_waitcnt vmcnt(2)
	ds_swizzle_b32 v0, v0 offset:swizzle(SWAP,4)
	s_waitcnt vmcnt(1)
	ds_swizzle_b32 v1, v1 offset:swizzle(SWAP,4)
	;; [unrolled: 2-line block ×3, first 2 shown]
	s_waitcnt lgkmcnt(2)
	buffer_store_dword v0, v29, s[0:3], 0 offen
	buffer_load_dword v0, v30, s[0:3], 0 offen
	s_waitcnt lgkmcnt(1)
	buffer_store_dword v1, v28, s[0:3], 0 offen
	s_waitcnt lgkmcnt(0)
	buffer_store_dword v2, v33, s[0:3], 0 offen
	buffer_load_dword v1, v34, s[0:3], 0 offen
	s_waitcnt vmcnt(3)
	ds_swizzle_b32 v0, v0 offset:swizzle(SWAP,4)
	s_waitcnt vmcnt(0)
	ds_swizzle_b32 v1, v1 offset:swizzle(SWAP,2)
	s_waitcnt lgkmcnt(1)
	buffer_store_dword v0, v30, s[0:3], 0 offen
	buffer_load_dword v0, v31, s[0:3], 0 offen
	s_nop 0
	buffer_load_dword v2, v35, s[0:3], 0 offen
	s_waitcnt vmcnt(1)
	ds_swizzle_b32 v0, v0 offset:swizzle(SWAP,4)
	s_waitcnt vmcnt(0)
	ds_swizzle_b32 v2, v2 offset:swizzle(SWAP,2)
	s_waitcnt lgkmcnt(2)
	buffer_store_dword v1, v34, s[0:3], 0 offen
	buffer_load_dword v1, v41, s[0:3], 0 offen
	s_waitcnt lgkmcnt(1)
	buffer_store_dword v0, v31, s[0:3], 0 offen
	s_waitcnt lgkmcnt(0)
	buffer_store_dword v2, v35, s[0:3], 0 offen
	buffer_load_dword v0, v32, s[0:3], 0 offen
	s_nop 0
	buffer_load_dword v2, v37, s[0:3], 0 offen
	buffer_load_dword v3, v36, s[0:3], 0 offen
	;; [unrolled: 1-line block ×3, first 2 shown]
	s_waitcnt vmcnt(6)
	ds_swizzle_b32 v1, v1 offset:swizzle(SWAP,1)
	s_waitcnt vmcnt(3)
	ds_swizzle_b32 v0, v0 offset:swizzle(SWAP,4)
	;; [unrolled: 2-line block ×4, first 2 shown]
	s_waitcnt lgkmcnt(2)
	buffer_store_dword v0, v32, s[0:3], 0 offen
	s_waitcnt lgkmcnt(1)
	buffer_store_dword v2, v37, s[0:3], 0 offen
	buffer_load_dword v0, v39, s[0:3], 0 offen
	s_nop 0
	buffer_load_dword v2, v38, s[0:3], 0 offen
	s_waitcnt vmcnt(1)
	ds_swizzle_b32 v0, v0 offset:swizzle(SWAP,2)
	s_waitcnt lgkmcnt(1)
	buffer_store_dword v3, v36, s[0:3], 0 offen
	buffer_load_dword v3, v43, s[0:3], 0 offen
	s_waitcnt vmcnt(2)
	ds_swizzle_b32 v2, v2 offset:swizzle(SWAP,2)
	s_waitcnt lgkmcnt(1)
	buffer_store_dword v0, v39, s[0:3], 0 offen
	;; [unrolled: 5-line block ×3, first 2 shown]
	buffer_load_dword v2, v44, s[0:3], 0 offen
	s_nop 0
	buffer_load_dword v10, v45, s[0:3], 0 offen
	buffer_load_dword v11, v46, s[0:3], 0 offen
	s_waitcnt lgkmcnt(0)
	buffer_store_dword v0, v40, s[0:3], 0 offen
	buffer_load_dword v0, v47, s[0:3], 0 offen
	s_nop 0
	buffer_load_dword v49, v48, s[0:3], 0 offen
	s_waitcnt vmcnt(1)
	ds_swizzle_b32 v0, v0 offset:swizzle(SWAP,1)
	buffer_store_dword v1, v41, s[0:3], 0 offen
	ds_swizzle_b32 v1, v6 offset:swizzle(SWAP,1)
	buffer_load_dword v4, off, s[0:3], 0
	buffer_load_dword v17, off, s[0:3], 0 offset:4
	s_waitcnt lgkmcnt(0)
	buffer_store_dword v1, v42, s[0:3], 0 offen
	ds_swizzle_b32 v1, v3 offset:swizzle(SWAP,1)
	buffer_load_dword v6, off, s[0:3], 0 offset:8
	buffer_load_dword v7, off, s[0:3], 0 offset:12
	ds_swizzle_b32 v3, v11 offset:swizzle(SWAP,1)
	s_waitcnt lgkmcnt(1)
	buffer_store_dword v1, v43, s[0:3], 0 offen
	ds_swizzle_b32 v1, v2 offset:swizzle(SWAP,1)
	ds_swizzle_b32 v2, v10 offset:swizzle(SWAP,1)
	buffer_load_dword v8, off, s[0:3], 0 offset:16
	buffer_load_dword v9, off, s[0:3], 0 offset:20
	s_waitcnt lgkmcnt(1)
	buffer_store_dword v1, v44, s[0:3], 0 offen
	s_waitcnt lgkmcnt(0)
	buffer_store_dword v2, v45, s[0:3], 0 offen
	buffer_store_dword v3, v46, s[0:3], 0 offen
	s_waitcnt vmcnt(12)
	ds_swizzle_b32 v1, v49 offset:swizzle(SWAP,1)
	buffer_load_dword v10, off, s[0:3], 0 offset:24
	buffer_load_dword v11, off, s[0:3], 0 offset:28
	;; [unrolled: 1-line block ×6, first 2 shown]
	s_nop 0
	buffer_store_dword v0, v47, s[0:3], 0 offen
	s_waitcnt lgkmcnt(0)
	buffer_store_dword v1, v48, s[0:3], 0 offen
	buffer_load_dword v0, off, s[0:3], 0 offset:48
	s_nop 0
	buffer_load_dword v1, off, s[0:3], 0 offset:52
	buffer_load_dword v2, off, s[0:3], 0 offset:56
	;; [unrolled: 1-line block ×3, first 2 shown]
	; wave barrier
	s_cbranch_scc1 .LBB18_2
; %bb.3:
	s_waitcnt vmcnt(21)
	v_mov_b32_e32 v5, v17
	s_branch .LBB18_5
.LBB18_4:
	v_pk_mov_b32 v[4:5], v[16:17], v[16:17] op_sel:[0,1]
.LBB18_5:
	s_load_dwordx2 s[4:5], s[4:5], 0x0
	v_lshl_or_b32 v16, s8, 12, v16
	v_mov_b32_e32 v17, 0
	v_lshlrev_b64 v[16:17], 2, v[16:17]
	s_waitcnt lgkmcnt(0)
	v_mov_b32_e32 v18, s5
	v_add_co_u32_e32 v16, vcc, s4, v16
	v_addc_co_u32_e32 v17, vcc, v18, v17, vcc
	s_waitcnt vmcnt(18)
	global_store_dwordx4 v[16:17], v[4:7], off
	s_waitcnt vmcnt(11)
	global_store_dwordx4 v[16:17], v[8:11], off offset:16
	s_waitcnt vmcnt(8)
	global_store_dwordx4 v[16:17], v[12:15], off offset:32
	s_waitcnt vmcnt(3)
	global_store_dwordx4 v[16:17], v[0:3], off offset:48
	s_endpgm
	.section	.rodata,"a",@progbits
	.p2align	6, 0x0
	.amdhsa_kernel _Z20warp_exchange_kernelILj256ELj16ELj16EN6common25BlockedToStripedShuffleOpEiEvPT3_j
		.amdhsa_group_segment_fixed_size 0
		.amdhsa_private_segment_fixed_size 80
		.amdhsa_kernarg_size 12
		.amdhsa_user_sgpr_count 8
		.amdhsa_user_sgpr_private_segment_buffer 1
		.amdhsa_user_sgpr_dispatch_ptr 0
		.amdhsa_user_sgpr_queue_ptr 0
		.amdhsa_user_sgpr_kernarg_segment_ptr 1
		.amdhsa_user_sgpr_dispatch_id 0
		.amdhsa_user_sgpr_flat_scratch_init 1
		.amdhsa_user_sgpr_kernarg_preload_length 0
		.amdhsa_user_sgpr_kernarg_preload_offset 0
		.amdhsa_user_sgpr_private_segment_size 0
		.amdhsa_uses_dynamic_stack 0
		.amdhsa_system_sgpr_private_segment_wavefront_offset 1
		.amdhsa_system_sgpr_workgroup_id_x 1
		.amdhsa_system_sgpr_workgroup_id_y 0
		.amdhsa_system_sgpr_workgroup_id_z 0
		.amdhsa_system_sgpr_workgroup_info 0
		.amdhsa_system_vgpr_workitem_id 0
		.amdhsa_next_free_vgpr 50
		.amdhsa_next_free_sgpr 10
		.amdhsa_accum_offset 52
		.amdhsa_reserve_vcc 1
		.amdhsa_reserve_flat_scratch 0
		.amdhsa_float_round_mode_32 0
		.amdhsa_float_round_mode_16_64 0
		.amdhsa_float_denorm_mode_32 3
		.amdhsa_float_denorm_mode_16_64 3
		.amdhsa_dx10_clamp 1
		.amdhsa_ieee_mode 1
		.amdhsa_fp16_overflow 0
		.amdhsa_tg_split 0
		.amdhsa_exception_fp_ieee_invalid_op 0
		.amdhsa_exception_fp_denorm_src 0
		.amdhsa_exception_fp_ieee_div_zero 0
		.amdhsa_exception_fp_ieee_overflow 0
		.amdhsa_exception_fp_ieee_underflow 0
		.amdhsa_exception_fp_ieee_inexact 0
		.amdhsa_exception_int_div_zero 0
	.end_amdhsa_kernel
	.section	.text._Z20warp_exchange_kernelILj256ELj16ELj16EN6common25BlockedToStripedShuffleOpEiEvPT3_j,"axG",@progbits,_Z20warp_exchange_kernelILj256ELj16ELj16EN6common25BlockedToStripedShuffleOpEiEvPT3_j,comdat
.Lfunc_end18:
	.size	_Z20warp_exchange_kernelILj256ELj16ELj16EN6common25BlockedToStripedShuffleOpEiEvPT3_j, .Lfunc_end18-_Z20warp_exchange_kernelILj256ELj16ELj16EN6common25BlockedToStripedShuffleOpEiEvPT3_j
                                        ; -- End function
	.section	.AMDGPU.csdata,"",@progbits
; Kernel info:
; codeLenInByte = 1992
; NumSgprs: 14
; NumVgprs: 50
; NumAgprs: 0
; TotalNumVgprs: 50
; ScratchSize: 80
; MemoryBound: 0
; FloatMode: 240
; IeeeMode: 1
; LDSByteSize: 0 bytes/workgroup (compile time only)
; SGPRBlocks: 1
; VGPRBlocks: 6
; NumSGPRsForWavesPerEU: 14
; NumVGPRsForWavesPerEU: 50
; AccumOffset: 52
; Occupancy: 8
; WaveLimiterHint : 0
; COMPUTE_PGM_RSRC2:SCRATCH_EN: 1
; COMPUTE_PGM_RSRC2:USER_SGPR: 8
; COMPUTE_PGM_RSRC2:TRAP_HANDLER: 0
; COMPUTE_PGM_RSRC2:TGID_X_EN: 1
; COMPUTE_PGM_RSRC2:TGID_Y_EN: 0
; COMPUTE_PGM_RSRC2:TGID_Z_EN: 0
; COMPUTE_PGM_RSRC2:TIDIG_COMP_CNT: 0
; COMPUTE_PGM_RSRC3_GFX90A:ACCUM_OFFSET: 12
; COMPUTE_PGM_RSRC3_GFX90A:TG_SPLIT: 0
	.section	.text._Z20warp_exchange_kernelILj256ELj16ELj32EN6common25BlockedToStripedShuffleOpEiEvPT3_j,"axG",@progbits,_Z20warp_exchange_kernelILj256ELj16ELj32EN6common25BlockedToStripedShuffleOpEiEvPT3_j,comdat
	.protected	_Z20warp_exchange_kernelILj256ELj16ELj32EN6common25BlockedToStripedShuffleOpEiEvPT3_j ; -- Begin function _Z20warp_exchange_kernelILj256ELj16ELj32EN6common25BlockedToStripedShuffleOpEiEvPT3_j
	.globl	_Z20warp_exchange_kernelILj256ELj16ELj32EN6common25BlockedToStripedShuffleOpEiEvPT3_j
	.p2align	8
	.type	_Z20warp_exchange_kernelILj256ELj16ELj32EN6common25BlockedToStripedShuffleOpEiEvPT3_j,@function
_Z20warp_exchange_kernelILj256ELj16ELj32EN6common25BlockedToStripedShuffleOpEiEvPT3_j: ; @_Z20warp_exchange_kernelILj256ELj16ELj32EN6common25BlockedToStripedShuffleOpEiEvPT3_j
; %bb.0:
	s_load_dword s7, s[4:5], 0x8
	v_lshlrev_b32_e32 v16, 4, v0
	v_or_b32_e32 v17, 1, v16
	v_or_b32_e32 v18, 2, v16
	;; [unrolled: 1-line block ×14, first 2 shown]
	s_waitcnt lgkmcnt(0)
	s_cmp_lg_u32 s7, 0
	v_or_b32_e32 v31, 15, v16
	s_cbranch_scc0 .LBB19_6
; %bb.1:
	v_mbcnt_lo_u32_b32 v0, -1, 0
	v_mbcnt_hi_u32_b32 v0, -1, v0
	v_and_b32_e32 v1, 3, v0
	v_add_u32_e32 v3, -1, v0
	v_xor_b32_e32 v38, 2, v1
	v_and_b32_e32 v34, 3, v3
	v_add_u32_e32 v3, 3, v38
	v_and_b32_e32 v39, 3, v3
	v_or_b32_e32 v40, 4, v3
	v_or_b32_e32 v41, 12, v3
	v_and_b32_e32 v3, 0x60, v0
	v_add_u32_e32 v4, 28, v0
	v_and_or_b32 v4, v4, 31, v3
	v_lshlrev_b32_e32 v42, 2, v4
	v_add_u32_e32 v4, 24, v0
	v_and_or_b32 v4, v4, 31, v3
	v_lshlrev_b32_e32 v43, 2, v4
	;; [unrolled: 3-line block ×3, first 2 shown]
	v_lshlrev_b32_e32 v4, 2, v0
	v_xor_b32_e32 v45, 64, v4
	v_add_u32_e32 v4, 12, v0
	v_and_or_b32 v4, v4, 31, v3
	v_lshlrev_b32_e32 v46, 2, v4
	v_add_u32_e32 v4, 8, v0
	v_and_or_b32 v4, v4, 31, v3
	v_lshlrev_b32_e32 v47, 2, v4
	v_add_u32_e32 v4, 4, v0
	v_and_or_b32 v3, v4, 31, v3
	v_lshlrev_b32_e32 v48, 2, v3
	v_lshrrev_b32_e32 v3, 2, v0
	v_bfe_u32 v49, v0, 2, 3
	v_add_u32_e32 v0, -1, v3
	v_and_b32_e32 v50, 7, v0
	v_add_u32_e32 v0, 6, v3
	v_and_b32_e32 v51, 7, v0
	v_add_u32_e32 v0, 5, v3
	v_xor_b32_e32 v53, 4, v49
	v_and_b32_e32 v52, 7, v0
	v_add_u32_e32 v0, 7, v53
	v_and_b32_e32 v54, 7, v0
	v_or_b32_e32 v55, 8, v0
	v_add_u32_e32 v0, 6, v53
	v_or_b32_e32 v2, 4, v1
	v_or_b32_e32 v32, 8, v1
	v_and_b32_e32 v56, 7, v0
	v_or_b32_e32 v57, 8, v0
	v_add_u32_e32 v0, 5, v53
	v_or_b32_e32 v33, 12, v1
	v_or_b32_e32 v35, 4, v34
	;; [unrolled: 1-line block ×4, first 2 shown]
	v_and_b32_e32 v58, 7, v0
	v_or_b32_e32 v59, 8, v0
	v_cmp_eq_u32_e32 vcc, 1, v1
	v_cmp_eq_u32_e64 s[0:1], 2, v1
	v_cmp_eq_u32_e64 s[2:3], 3, v1
	;; [unrolled: 1-line block ×36, first 2 shown]
	v_mov_b32_e32 v7, v31
	v_mov_b32_e32 v6, v30
	;; [unrolled: 1-line block ×16, first 2 shown]
	v_or_b32_e32 v60, 4, v38
	v_or_b32_e32 v61, 8, v38
	;; [unrolled: 1-line block ×9, first 2 shown]
.LBB19_2:                               ; =>This Inner Loop Header: Depth=1
	v_mov_b32_dpp v1, v1 quad_perm:[3,0,1,2] row_mask:0xf bank_mask:0xf
	v_cmp_eq_u32_e64 s[78:79], 1, v33
	v_cndmask_b32_e64 v72, v0, v1, s[78:79]
	v_cmp_eq_u32_e64 s[78:79], 1, v34
	v_cndmask_b32_e64 v73, v0, v1, s[78:79]
	;; [unrolled: 2-line block ×12, first 2 shown]
	v_cmp_eq_u32_e64 s[78:79], 1, v41
	v_cndmask_b32_e32 v69, v0, v1, vcc
	v_cndmask_b32_e64 v70, v0, v1, s[30:31]
	v_cndmask_b32_e64 v71, v0, v1, s[62:63]
	;; [unrolled: 1-line block ×3, first 2 shown]
	s_waitcnt lgkmcnt(13)
	v_mov_b32_dpp v1, v2 quad_perm:[2,3,0,1] row_mask:0xf bank_mask:0xf
	v_cmp_eq_u32_e64 s[78:79], 2, v33
	s_waitcnt lgkmcnt(12)
	v_mov_b32_dpp v2, v3 quad_perm:[1,2,3,0] row_mask:0xf bank_mask:0xf
	s_waitcnt lgkmcnt(10)
	v_mov_b32_dpp v3, v13 quad_perm:[3,0,1,2] row_mask:0xf bank_mask:0xf
	v_cndmask_b32_e64 v13, v69, v1, s[0:1]
	v_cndmask_b32_e64 v69, v70, v1, s[34:35]
	;; [unrolled: 1-line block ×4, first 2 shown]
	v_cmp_eq_u32_e64 s[78:79], 2, v34
	v_cndmask_b32_e64 v72, v73, v1, s[78:79]
	v_cmp_eq_u32_e64 s[78:79], 2, v35
	v_cndmask_b32_e64 v73, v74, v1, s[78:79]
	;; [unrolled: 2-line block ×12, first 2 shown]
	v_cmp_eq_u32_e64 s[78:79], 3, v33
	s_waitcnt lgkmcnt(9)
	v_mov_b32_dpp v1, v14 quad_perm:[2,3,0,1] row_mask:0xf bank_mask:0xf
	v_cndmask_b32_e64 v14, v69, v2, s[36:37]
	v_cndmask_b32_e64 v69, v70, v2, s[66:67]
	;; [unrolled: 1-line block ×3, first 2 shown]
	v_cmp_eq_u32_e64 s[78:79], 3, v34
	v_cndmask_b32_e64 v71, v72, v2, s[78:79]
	v_cmp_eq_u32_e64 s[78:79], 3, v35
	v_cndmask_b32_e64 v72, v73, v2, s[78:79]
	v_cmp_eq_u32_e64 s[78:79], 3, v36
	v_cndmask_b32_e64 v73, v74, v2, s[78:79]
	v_cmp_eq_u32_e64 s[78:79], 3, v37
	v_cndmask_b32_e64 v74, v75, v2, s[78:79]
	v_cmp_eq_u32_e64 s[78:79], 3, v38
	v_cndmask_b32_e64 v75, v76, v2, s[78:79]
	v_cmp_eq_u32_e64 s[78:79], 3, v60
	v_cndmask_b32_e64 v76, v77, v2, s[78:79]
	v_cmp_eq_u32_e64 s[78:79], 3, v61
	v_cndmask_b32_e64 v77, v78, v2, s[78:79]
	v_cmp_eq_u32_e64 s[78:79], 3, v62
	v_cndmask_b32_e64 v78, v79, v2, s[78:79]
	v_cmp_eq_u32_e64 s[78:79], 3, v39
	v_cndmask_b32_e64 v79, v80, v2, s[78:79]
	v_cmp_eq_u32_e64 s[78:79], 3, v40
	v_cndmask_b32_e64 v80, v81, v2, s[78:79]
	v_cmp_eq_u32_e64 s[78:79], 3, v63
	v_cndmask_b32_e64 v81, v82, v2, s[78:79]
	v_cmp_eq_u32_e64 s[78:79], 3, v41
	v_cndmask_b32_e64 v0, v0, v2, s[78:79]
	v_cmp_eq_u32_e64 s[78:79], 4, v33
	v_cndmask_b32_e64 v13, v13, v2, s[2:3]
	s_waitcnt lgkmcnt(8)
	v_mov_b32_dpp v2, v15 quad_perm:[1,2,3,0] row_mask:0xf bank_mask:0xf
	v_cndmask_b32_e64 v15, v69, v12, s[68:69]
	v_cndmask_b32_e64 v69, v70, v12, s[78:79]
	v_cmp_eq_u32_e64 s[78:79], 4, v34
	v_cndmask_b32_e64 v70, v71, v12, s[78:79]
	v_cmp_eq_u32_e64 s[78:79], 4, v35
	;; [unrolled: 2-line block ×12, first 2 shown]
	v_cndmask_b32_e64 v13, v13, v12, s[76:77]
	v_cndmask_b32_e64 v14, v14, v12, s[38:39]
	v_cndmask_b32_e64 v0, v0, v12, s[78:79]
	v_cmp_eq_u32_e64 s[78:79], 5, v33
	v_cndmask_b32_e64 v12, v13, v3, s[8:9]
	v_cndmask_b32_e64 v13, v14, v3, s[40:41]
	;; [unrolled: 1-line block ×4, first 2 shown]
	v_cmp_eq_u32_e64 s[78:79], 5, v34
	v_cndmask_b32_e64 v69, v70, v3, s[78:79]
	v_cmp_eq_u32_e64 s[78:79], 5, v35
	v_cndmask_b32_e64 v70, v71, v3, s[78:79]
	v_cmp_eq_u32_e64 s[78:79], 5, v36
	v_cndmask_b32_e64 v71, v72, v3, s[78:79]
	v_cmp_eq_u32_e64 s[78:79], 5, v37
	v_cndmask_b32_e64 v72, v73, v3, s[78:79]
	v_cmp_eq_u32_e64 s[78:79], 5, v38
	v_cndmask_b32_e64 v73, v74, v3, s[78:79]
	v_cmp_eq_u32_e64 s[78:79], 5, v60
	v_cndmask_b32_e64 v74, v75, v3, s[78:79]
	v_cmp_eq_u32_e64 s[78:79], 5, v61
	v_cndmask_b32_e64 v75, v76, v3, s[78:79]
	v_cmp_eq_u32_e64 s[78:79], 5, v62
	v_cndmask_b32_e64 v76, v77, v3, s[78:79]
	v_cmp_eq_u32_e64 s[78:79], 5, v39
	v_cndmask_b32_e64 v77, v78, v3, s[78:79]
	v_cmp_eq_u32_e64 s[78:79], 5, v40
	v_cndmask_b32_e64 v78, v79, v3, s[78:79]
	v_cmp_eq_u32_e64 s[78:79], 5, v63
	v_cndmask_b32_e64 v79, v80, v3, s[78:79]
	v_cmp_eq_u32_e64 s[78:79], 5, v41
	v_cndmask_b32_e64 v0, v0, v3, s[78:79]
	v_cmp_eq_u32_e64 s[78:79], 6, v33
	s_waitcnt lgkmcnt(1)
	v_mov_b32_dpp v3, v6 quad_perm:[2,3,0,1] row_mask:0xf bank_mask:0xf
	v_cndmask_b32_e64 v6, v12, v1, s[10:11]
	v_cndmask_b32_e64 v12, v13, v1, s[42:43]
	;; [unrolled: 1-line block ×4, first 2 shown]
	v_cmp_eq_u32_e64 s[78:79], 6, v34
	v_cndmask_b32_e64 v69, v69, v1, s[78:79]
	v_cmp_eq_u32_e64 s[78:79], 6, v35
	v_cndmask_b32_e64 v70, v70, v1, s[78:79]
	;; [unrolled: 2-line block ×12, first 2 shown]
	s_waitcnt lgkmcnt(0)
	v_mov_b32_dpp v1, v7 quad_perm:[1,2,3,0] row_mask:0xf bank_mask:0xf
	v_cndmask_b32_e64 v7, v13, v2, s[74:75]
	v_cmp_eq_u32_e64 s[78:79], 8, v32
	v_mov_b32_dpp v9, v9 quad_perm:[3,0,1,2] row_mask:0xf bank_mask:0xf
	v_cndmask_b32_e64 v6, v6, v2, s[12:13]
	v_cndmask_b32_e64 v7, v7, v8, s[78:79]
	v_cmp_eq_u32_e64 s[78:79], 9, v32
	v_mov_b32_dpp v10, v10 quad_perm:[2,3,0,1] row_mask:0xf bank_mask:0xf
	v_cndmask_b32_e64 v6, v6, v8, s[14:15]
	;; [unrolled: 4-line block ×3, first 2 shown]
	v_cndmask_b32_e64 v7, v7, v10, s[78:79]
	v_cmp_eq_u32_e64 s[78:79], 11, v32
	v_cndmask_b32_e64 v6, v6, v10, s[18:19]
	v_cndmask_b32_e64 v7, v7, v11, s[78:79]
	v_cmp_eq_u32_e64 s[78:79], 12, v32
	v_mov_b32_dpp v5, v5 quad_perm:[3,0,1,2] row_mask:0xf bank_mask:0xf
	v_cndmask_b32_e64 v6, v6, v11, s[20:21]
	v_cndmask_b32_e64 v7, v7, v4, s[78:79]
	v_cmp_eq_u32_e64 s[78:79], 13, v32
	v_cndmask_b32_e64 v6, v6, v4, s[22:23]
	v_cndmask_b32_e64 v7, v7, v5, s[78:79]
	v_cmp_eq_u32_e64 s[78:79], 14, v32
	;; [unrolled: 3-line block ×4, first 2 shown]
	v_cndmask_b32_e64 v15, v6, v1, s[28:29]
	v_cndmask_b32_e64 v6, v12, v2, s[44:45]
	;; [unrolled: 1-line block ×3, first 2 shown]
	v_cmp_eq_u32_e64 s[78:79], 8, v33
	v_cndmask_b32_e64 v12, v12, v8, s[78:79]
	v_cmp_eq_u32_e64 s[78:79], 9, v33
	v_cndmask_b32_e64 v12, v12, v9, s[78:79]
	;; [unrolled: 2-line block ×106, first 2 shown]
	v_cndmask_b32_e64 v77, v77, v3, s[78:79]
	v_cmp_eq_u32_e64 s[78:79], 15, v63
	v_cndmask_b32_e64 v6, v6, v9, s[48:49]
	v_cndmask_b32_e64 v77, v77, v1, s[78:79]
	v_cmp_eq_u32_e64 s[78:79], 7, v41
	v_cndmask_b32_e64 v6, v6, v10, s[50:51]
	;; [unrolled: 3-line block ×8, first 2 shown]
	v_cmp_eq_u32_e64 s[78:79], 14, v41
	v_mov_b32_dpp v5, v70 quad_perm:[1,2,3,0] row_mask:0xf bank_mask:0xf
	v_mov_b32_dpp v70, v74 quad_perm:[2,3,0,1] row_mask:0xf bank_mask:0xf
	ds_bpermute_b32 v74, v42, v6
	v_cndmask_b32_e64 v0, v0, v3, s[78:79]
	v_cmp_eq_u32_e64 s[78:79], 15, v41
	v_mov_b32_dpp v2, v71 quad_perm:[2,3,0,1] row_mask:0xf bank_mask:0xf
	v_mov_b32_dpp v71, v75 quad_perm:[3,0,1,2] row_mask:0xf bank_mask:0xf
	ds_bpermute_b32 v75, v43, v7
	v_cndmask_b32_e64 v0, v0, v1, s[78:79]
	v_mov_b32_dpp v1, v13 quad_perm:[1,2,3,0] row_mask:0xf bank_mask:0xf
	v_mov_b32_dpp v3, v14 quad_perm:[1,2,3,0] row_mask:0xf bank_mask:0xf
	ds_bpermute_b32 v14, v44, v12
	ds_bpermute_b32 v13, v45, v1
	v_mov_b32_dpp v4, v69 quad_perm:[1,2,3,0] row_mask:0xf bank_mask:0xf
	v_mov_b32_dpp v0, v0 quad_perm:[3,0,1,2] row_mask:0xf bank_mask:0xf
	ds_bpermute_b32 v12, v46, v3
	v_cmp_eq_u32_e64 s[78:79], 1, v49
	ds_bpermute_b32 v11, v47, v4
	ds_bpermute_b32 v3, v48, v0
	s_waitcnt lgkmcnt(6)
	v_cndmask_b32_e64 v0, v15, v74, s[78:79]
	v_cmp_eq_u32_e64 s[78:79], 2, v49
	ds_bpermute_b32 v10, v48, v5
	s_waitcnt lgkmcnt(6)
	v_cndmask_b32_e64 v0, v0, v75, s[78:79]
	v_cmp_eq_u32_e64 s[78:79], 3, v49
	v_mov_b32_dpp v8, v72 quad_perm:[2,3,0,1] row_mask:0xf bank_mask:0xf
	s_waitcnt lgkmcnt(5)
	v_cndmask_b32_e64 v0, v0, v14, s[78:79]
	v_cmp_eq_u32_e64 s[78:79], 4, v49
	v_mov_b32_dpp v69, v73 quad_perm:[2,3,0,1] row_mask:0xf bank_mask:0xf
	ds_bpermute_b32 v9, v42, v8
	s_waitcnt lgkmcnt(5)
	v_cndmask_b32_e64 v0, v0, v13, s[78:79]
	v_cmp_eq_u32_e64 s[78:79], 5, v49
	ds_bpermute_b32 v8, v43, v69
	s_waitcnt lgkmcnt(5)
	v_cndmask_b32_e64 v0, v0, v12, s[78:79]
	v_cmp_eq_u32_e64 s[78:79], 6, v49
	ds_bpermute_b32 v7, v44, v70
	s_waitcnt lgkmcnt(5)
	v_cndmask_b32_e64 v0, v0, v11, s[78:79]
	v_cmp_eq_u32_e64 s[78:79], 7, v49
	v_mov_b32_dpp v72, v76 quad_perm:[3,0,1,2] row_mask:0xf bank_mask:0xf
	ds_bpermute_b32 v6, v45, v71
	s_waitcnt lgkmcnt(4)
	v_cndmask_b32_e64 v0, v0, v10, s[78:79]
	v_cmp_eq_u32_e64 s[78:79], 8, v49
	v_mov_b32_dpp v73, v77 quad_perm:[3,0,1,2] row_mask:0xf bank_mask:0xf
	ds_bpermute_b32 v5, v46, v72
	v_cndmask_b32_e64 v0, v0, v2, s[78:79]
	v_cmp_eq_u32_e64 s[78:79], 9, v49
	ds_bpermute_b32 v4, v47, v73
	s_waitcnt lgkmcnt(5)
	v_cndmask_b32_e64 v0, v0, v9, s[78:79]
	v_cmp_eq_u32_e64 s[78:79], 10, v49
	s_waitcnt lgkmcnt(4)
	v_cndmask_b32_e64 v0, v0, v8, s[78:79]
	v_cmp_eq_u32_e64 s[78:79], 11, v49
	;; [unrolled: 3-line block ×6, first 2 shown]
	v_cndmask_b32_e64 v0, v0, v3, s[78:79]
	v_cmp_eq_u32_e64 s[78:79], 1, v64
	v_cndmask_b32_e64 v1, v15, v74, s[78:79]
	v_cmp_eq_u32_e64 s[78:79], 2, v64
	;; [unrolled: 2-line block ×225, first 2 shown]
	v_cndmask_b32_e64 v7, v2, v3, s[78:79]
	ds_bpermute_b32 v2, v48, v69
	ds_bpermute_b32 v3, v48, v70
	;; [unrolled: 1-line block ×14, first 2 shown]
	s_add_i32 s7, s7, -1
	s_cmp_lg_u32 s7, 0
	; wave barrier
	s_cbranch_scc1 .LBB19_2
; %bb.3:
	s_branch .LBB19_5
.LBB19_4:
	s_waitcnt lgkmcnt(12)
	v_pk_mov_b32 v[2:3], v[18:19], v[18:19] op_sel:[0,1]
	s_waitcnt lgkmcnt(10)
	v_pk_mov_b32 v[12:13], v[20:21], v[20:21] op_sel:[0,1]
	;; [unrolled: 2-line block ×7, first 2 shown]
	v_pk_mov_b32 v[0:1], v[16:17], v[16:17] op_sel:[0,1]
.LBB19_5:
	s_load_dwordx2 s[0:1], s[4:5], 0x0
	v_lshl_or_b32 v16, s6, 12, v16
	v_mov_b32_e32 v17, 0
	v_lshlrev_b64 v[16:17], 2, v[16:17]
	s_waitcnt lgkmcnt(0)
	v_mov_b32_e32 v18, s1
	v_add_co_u32_e32 v16, vcc, s0, v16
	v_addc_co_u32_e32 v17, vcc, v18, v17, vcc
	global_store_dwordx4 v[16:17], v[0:3], off
	global_store_dwordx4 v[16:17], v[12:15], off offset:16
	global_store_dwordx4 v[16:17], v[8:11], off offset:32
	global_store_dwordx4 v[16:17], v[4:7], off offset:48
	s_endpgm
.LBB19_6:
                                        ; implicit-def: $vgpr0_vgpr1
                                        ; implicit-def: $vgpr6_vgpr7
                                        ; implicit-def: $vgpr10_vgpr11
                                        ; implicit-def: $vgpr14_vgpr15
	s_cbranch_execnz .LBB19_4
	s_branch .LBB19_5
	.section	.rodata,"a",@progbits
	.p2align	6, 0x0
	.amdhsa_kernel _Z20warp_exchange_kernelILj256ELj16ELj32EN6common25BlockedToStripedShuffleOpEiEvPT3_j
		.amdhsa_group_segment_fixed_size 0
		.amdhsa_private_segment_fixed_size 0
		.amdhsa_kernarg_size 12
		.amdhsa_user_sgpr_count 6
		.amdhsa_user_sgpr_private_segment_buffer 1
		.amdhsa_user_sgpr_dispatch_ptr 0
		.amdhsa_user_sgpr_queue_ptr 0
		.amdhsa_user_sgpr_kernarg_segment_ptr 1
		.amdhsa_user_sgpr_dispatch_id 0
		.amdhsa_user_sgpr_flat_scratch_init 0
		.amdhsa_user_sgpr_kernarg_preload_length 0
		.amdhsa_user_sgpr_kernarg_preload_offset 0
		.amdhsa_user_sgpr_private_segment_size 0
		.amdhsa_uses_dynamic_stack 0
		.amdhsa_system_sgpr_private_segment_wavefront_offset 0
		.amdhsa_system_sgpr_workgroup_id_x 1
		.amdhsa_system_sgpr_workgroup_id_y 0
		.amdhsa_system_sgpr_workgroup_id_z 0
		.amdhsa_system_sgpr_workgroup_info 0
		.amdhsa_system_vgpr_workitem_id 0
		.amdhsa_next_free_vgpr 84
		.amdhsa_next_free_sgpr 80
		.amdhsa_accum_offset 84
		.amdhsa_reserve_vcc 1
		.amdhsa_reserve_flat_scratch 0
		.amdhsa_float_round_mode_32 0
		.amdhsa_float_round_mode_16_64 0
		.amdhsa_float_denorm_mode_32 3
		.amdhsa_float_denorm_mode_16_64 3
		.amdhsa_dx10_clamp 1
		.amdhsa_ieee_mode 1
		.amdhsa_fp16_overflow 0
		.amdhsa_tg_split 0
		.amdhsa_exception_fp_ieee_invalid_op 0
		.amdhsa_exception_fp_denorm_src 0
		.amdhsa_exception_fp_ieee_div_zero 0
		.amdhsa_exception_fp_ieee_overflow 0
		.amdhsa_exception_fp_ieee_underflow 0
		.amdhsa_exception_fp_ieee_inexact 0
		.amdhsa_exception_int_div_zero 0
	.end_amdhsa_kernel
	.section	.text._Z20warp_exchange_kernelILj256ELj16ELj32EN6common25BlockedToStripedShuffleOpEiEvPT3_j,"axG",@progbits,_Z20warp_exchange_kernelILj256ELj16ELj32EN6common25BlockedToStripedShuffleOpEiEvPT3_j,comdat
.Lfunc_end19:
	.size	_Z20warp_exchange_kernelILj256ELj16ELj32EN6common25BlockedToStripedShuffleOpEiEvPT3_j, .Lfunc_end19-_Z20warp_exchange_kernelILj256ELj16ELj32EN6common25BlockedToStripedShuffleOpEiEvPT3_j
                                        ; -- End function
	.section	.AMDGPU.csdata,"",@progbits
; Kernel info:
; codeLenInByte = 8808
; NumSgprs: 84
; NumVgprs: 84
; NumAgprs: 0
; TotalNumVgprs: 84
; ScratchSize: 0
; MemoryBound: 0
; FloatMode: 240
; IeeeMode: 1
; LDSByteSize: 0 bytes/workgroup (compile time only)
; SGPRBlocks: 10
; VGPRBlocks: 10
; NumSGPRsForWavesPerEU: 84
; NumVGPRsForWavesPerEU: 84
; AccumOffset: 84
; Occupancy: 5
; WaveLimiterHint : 0
; COMPUTE_PGM_RSRC2:SCRATCH_EN: 0
; COMPUTE_PGM_RSRC2:USER_SGPR: 6
; COMPUTE_PGM_RSRC2:TRAP_HANDLER: 0
; COMPUTE_PGM_RSRC2:TGID_X_EN: 1
; COMPUTE_PGM_RSRC2:TGID_Y_EN: 0
; COMPUTE_PGM_RSRC2:TGID_Z_EN: 0
; COMPUTE_PGM_RSRC2:TIDIG_COMP_CNT: 0
; COMPUTE_PGM_RSRC3_GFX90A:ACCUM_OFFSET: 20
; COMPUTE_PGM_RSRC3_GFX90A:TG_SPLIT: 0
	.section	.text._Z20warp_exchange_kernelILj256ELj32ELj32EN6common25BlockedToStripedShuffleOpEiEvPT3_j,"axG",@progbits,_Z20warp_exchange_kernelILj256ELj32ELj32EN6common25BlockedToStripedShuffleOpEiEvPT3_j,comdat
	.protected	_Z20warp_exchange_kernelILj256ELj32ELj32EN6common25BlockedToStripedShuffleOpEiEvPT3_j ; -- Begin function _Z20warp_exchange_kernelILj256ELj32ELj32EN6common25BlockedToStripedShuffleOpEiEvPT3_j
	.globl	_Z20warp_exchange_kernelILj256ELj32ELj32EN6common25BlockedToStripedShuffleOpEiEvPT3_j
	.p2align	8
	.type	_Z20warp_exchange_kernelILj256ELj32ELj32EN6common25BlockedToStripedShuffleOpEiEvPT3_j,@function
_Z20warp_exchange_kernelILj256ELj32ELj32EN6common25BlockedToStripedShuffleOpEiEvPT3_j: ; @_Z20warp_exchange_kernelILj256ELj32ELj32EN6common25BlockedToStripedShuffleOpEiEvPT3_j
; %bb.0:
	s_add_u32 s0, s0, s9
	s_load_dword s9, s[4:5], 0x8
	s_addc_u32 s1, s1, 0
	v_lshlrev_b32_e32 v32, 5, v0
	v_or_b32_e32 v33, 1, v32
	v_or_b32_e32 v11, 3, v32
	;; [unrolled: 1-line block ×30, first 2 shown]
	s_waitcnt lgkmcnt(0)
	s_cmp_eq_u32 s9, 0
	v_or_b32_e32 v2, 30, v32
	s_cbranch_scc1 .LBB20_4
; %bb.1:
	v_mbcnt_lo_u32_b32 v8, -1, 0
	v_mbcnt_hi_u32_b32 v8, -1, v8
	v_and_b32_e32 v9, 16, v8
	v_lshlrev_b32_e32 v34, 2, v9
	v_mov_b32_e32 v35, 0x44
	v_cmp_eq_u32_e32 vcc, 0, v9
	v_mov_b32_e32 v9, 0x48
	v_mov_b32_e32 v38, 0x4c
	v_mov_b32_e32 v40, 0x50
	v_mov_b32_e32 v42, 0x54
	v_mov_b32_e32 v44, 0x58
	v_mov_b32_e32 v46, 0x5c
	v_mov_b32_e32 v48, 0x60
	v_mov_b32_e32 v50, 0x64
	v_mov_b32_e32 v52, 0x68
	v_mov_b32_e32 v54, 0x6c
	v_mov_b32_e32 v56, 0x70
	v_mov_b32_e32 v58, 0x74
	v_mov_b32_e32 v60, 0x78
	v_mov_b32_e32 v62, 0x7c
	v_and_b32_e32 v64, 8, v8
	v_and_b32_e32 v76, 4, v8
	;; [unrolled: 1-line block ×4, first 2 shown]
	v_cndmask_b32_e32 v36, 4, v35, vcc
	v_cndmask_b32_e32 v37, 8, v9, vcc
	;; [unrolled: 1-line block ×15, first 2 shown]
	v_cmp_eq_u32_e32 vcc, 0, v8
	v_lshlrev_b32_e32 v8, 2, v8
	v_xor_b32_e32 v8, 4, v8
	v_or_b32_e32 v97, 0, v8
	v_cndmask_b32_e64 v8, 16, 20, vcc
	v_add_u32_e32 v99, 0, v8
	v_cndmask_b32_e64 v8, 24, 28, vcc
	v_add_u32_e32 v100, 0, v8
	v_cndmask_b32_e64 v8, 32, 36, vcc
	v_lshlrev_b32_e32 v65, 2, v64
	v_cmp_eq_u32_e64 s[10:11], 0, v64
	v_lshlrev_b32_e32 v77, 2, v76
	v_cmp_eq_u32_e64 s[12:13], 0, v76
	v_lshlrev_b32_e32 v87, 2, v86
	v_cmp_eq_u32_e64 s[6:7], 0, v86
	v_add_u32_e32 v101, 0, v8
	v_cndmask_b32_e64 v8, 40, 44, vcc
	v_xor_b32_e32 v34, 64, v34
	v_xor_b32_e32 v65, 32, v65
	v_cndmask_b32_e64 v64, 4, 36, s[10:11]
	v_cndmask_b32_e64 v66, 8, 40, s[10:11]
	;; [unrolled: 1-line block ×11, first 2 shown]
	v_xor_b32_e32 v77, 16, v77
	v_cndmask_b32_e64 v76, 4, 20, s[12:13]
	v_cndmask_b32_e64 v78, 64, v40, s[12:13]
	;; [unrolled: 1-line block ×9, first 2 shown]
	v_xor_b32_e32 v87, 8, v87
	v_cndmask_b32_e64 v86, 4, 12, s[6:7]
	v_add_u32_e32 v102, 0, v8
	v_cndmask_b32_e64 v8, 48, 52, vcc
	v_cndmask_b32_e64 v91, v40, v44, s[6:7]
	v_cndmask_b32_e64 v98, 8, 12, vcc
	v_cndmask_b32_e32 v107, v40, v42, vcc
	v_cndmask_b32_e64 v92, v42, v46, s[6:7]
	v_cndmask_b32_e32 v108, v44, v46, vcc
	v_cndmask_b32_e64 v93, v48, v52, s[6:7]
	v_cndmask_b32_e32 v109, v48, v50, vcc
	v_cndmask_b32_e64 v94, v50, v54, s[6:7]
	v_cndmask_b32_e32 v110, v52, v54, vcc
	v_cndmask_b32_e64 v95, v56, v60, s[6:7]
	v_cndmask_b32_e32 v111, v56, v58, vcc
	v_cndmask_b32_e64 v96, v58, v62, s[6:7]
	v_cndmask_b32_e32 v112, v60, v62, vcc
	v_cndmask_b32_e64 v89, 64, v9, s[6:7]
	v_cndmask_b32_e32 v106, v9, v38, vcc
	v_cndmask_b32_e64 v90, v35, v38, s[6:7]
	v_cndmask_b32_e32 v105, 64, v35, vcc
	v_add_u32_e32 v9, 0, v34
	v_add_u32_e32 v34, 0, v36
	;; [unrolled: 1-line block ×20, first 2 shown]
	v_cndmask_b32_e64 v53, 16, 48, s[10:11]
	v_cndmask_b32_e64 v54, 20, 52, s[10:11]
	;; [unrolled: 1-line block ×4, first 2 shown]
	v_add_u32_e32 v57, 0, v68
	v_add_u32_e32 v58, 0, v69
	;; [unrolled: 1-line block ×10, first 2 shown]
	v_cndmask_b32_e64 v67, 8, 24, s[12:13]
	v_cndmask_b32_e64 v68, 12, 28, s[12:13]
	;; [unrolled: 1-line block ×6, first 2 shown]
	v_add_u32_e32 v73, 0, v78
	v_add_u32_e32 v74, 0, v79
	v_add_u32_e32 v75, 0, v80
	v_add_u32_e32 v76, 0, v81
	v_add_u32_e32 v77, 0, v82
	v_add_u32_e32 v78, 0, v83
	v_add_u32_e32 v79, 0, v84
	v_add_u32_e32 v80, 0, v85
	v_or_b32_e32 v81, 0, v87
	v_or_b32_e32 v82, 0, v86
	v_cndmask_b32_e64 v83, 16, 24, s[6:7]
	v_cndmask_b32_e64 v84, 20, 28, s[6:7]
	;; [unrolled: 1-line block ×6, first 2 shown]
	v_add_u32_e32 v103, 0, v8
	v_cndmask_b32_e64 v8, 56, 60, vcc
	v_add_u32_e32 v53, 0, v53
	v_add_u32_e32 v54, 0, v54
	;; [unrolled: 1-line block ×24, first 2 shown]
	v_or_b32_e32 v98, 0, v98
	v_add_u32_e32 v104, 0, v8
	v_add_u32_e32 v105, 0, v105
	;; [unrolled: 1-line block ×9, first 2 shown]
	v_mov_b32_e32 v8, v32
.LBB20_2:                               ; =>This Inner Loop Header: Depth=1
	buffer_store_dword v8, off, s[0:3], 0
	buffer_store_dword v33, off, s[0:3], 0 offset:4
	buffer_store_dword v11, off, s[0:3], 0 offset:12
	;; [unrolled: 1-line block ×3, first 2 shown]
	s_waitcnt vmcnt(44)
	buffer_store_dword v12, off, s[0:3], 0 offset:16
	s_waitcnt vmcnt(44)
	buffer_store_dword v13, off, s[0:3], 0 offset:20
	s_waitcnt vmcnt(42)
	buffer_store_dword v15, off, s[0:3], 0 offset:28
	buffer_store_dword v14, off, s[0:3], 0 offset:24
	s_waitcnt vmcnt(42)
	buffer_store_dword v16, off, s[0:3], 0 offset:32
	s_waitcnt vmcnt(42)
	buffer_store_dword v17, off, s[0:3], 0 offset:36
	s_waitcnt vmcnt(40)
	buffer_store_dword v19, off, s[0:3], 0 offset:44
	buffer_store_dword v18, off, s[0:3], 0 offset:40
	s_waitcnt vmcnt(40)
	buffer_store_dword v20, off, s[0:3], 0 offset:48
	s_waitcnt vmcnt(40)
	buffer_store_dword v21, off, s[0:3], 0 offset:52
	s_waitcnt vmcnt(38)
	buffer_store_dword v23, off, s[0:3], 0 offset:60
	buffer_store_dword v22, off, s[0:3], 0 offset:56
	s_waitcnt vmcnt(38)
	buffer_store_dword v24, off, s[0:3], 0 offset:64
	s_waitcnt vmcnt(38)
	buffer_store_dword v25, off, s[0:3], 0 offset:68
	buffer_load_dword v8, v9, s[0:3], 0 offen
	s_add_i32 s9, s9, -1
	s_cmp_lg_u32 s9, 0
	s_waitcnt vmcnt(0)
	ds_swizzle_b32 v8, v8 offset:swizzle(SWAP,16)
	s_waitcnt lgkmcnt(0)
	buffer_store_dword v8, v9, s[0:3], 0 offen
	buffer_load_dword v8, v34, s[0:3], 0 offen
	s_nop 0
	buffer_store_dword v26, off, s[0:3], 0 offset:72
	buffer_store_dword v27, off, s[0:3], 0 offset:76
	s_waitcnt vmcnt(2)
	ds_swizzle_b32 v8, v8 offset:swizzle(SWAP,16)
	s_waitcnt lgkmcnt(0)
	buffer_store_dword v8, v34, s[0:3], 0 offen
	buffer_load_dword v8, v35, s[0:3], 0 offen
	s_waitcnt vmcnt(0)
	ds_swizzle_b32 v8, v8 offset:swizzle(SWAP,16)
	s_waitcnt lgkmcnt(0)
	buffer_store_dword v8, v35, s[0:3], 0 offen
	buffer_load_dword v8, v36, s[0:3], 0 offen
	s_nop 0
	buffer_store_dword v28, off, s[0:3], 0 offset:80
	buffer_store_dword v29, off, s[0:3], 0 offset:84
	s_waitcnt vmcnt(2)
	ds_swizzle_b32 v8, v8 offset:swizzle(SWAP,16)
	s_waitcnt lgkmcnt(0)
	buffer_store_dword v8, v36, s[0:3], 0 offen
	buffer_load_dword v8, v37, s[0:3], 0 offen
	;; [unrolled: 13-line block ×4, first 2 shown]
	s_waitcnt vmcnt(0)
	ds_swizzle_b32 v4, v4 offset:swizzle(SWAP,16)
	s_waitcnt lgkmcnt(0)
	buffer_store_dword v4, v41, s[0:3], 0 offen
	buffer_load_dword v4, v42, s[0:3], 0 offen
	s_nop 0
	buffer_load_dword v5, v49, s[0:3], 0 offen
	s_nop 0
	buffer_store_dword v6, off, s[0:3], 0 offset:104
	buffer_store_dword v7, off, s[0:3], 0 offset:108
	s_waitcnt vmcnt(3)
	ds_swizzle_b32 v4, v4 offset:swizzle(SWAP,16)
	s_waitcnt vmcnt(2)
	ds_swizzle_b32 v5, v5 offset:swizzle(SWAP,8)
	s_waitcnt lgkmcnt(1)
	buffer_store_dword v4, v42, s[0:3], 0 offen
	s_waitcnt lgkmcnt(0)
	buffer_store_dword v5, v49, s[0:3], 0 offen
	buffer_load_dword v4, v43, s[0:3], 0 offen
	s_nop 0
	buffer_load_dword v5, v50, s[0:3], 0 offen
	s_waitcnt vmcnt(1)
	ds_swizzle_b32 v4, v4 offset:swizzle(SWAP,16)
	s_waitcnt vmcnt(0)
	ds_swizzle_b32 v5, v5 offset:swizzle(SWAP,8)
	s_waitcnt lgkmcnt(1)
	buffer_store_dword v4, v43, s[0:3], 0 offen
	s_waitcnt lgkmcnt(0)
	buffer_store_dword v5, v50, s[0:3], 0 offen
	buffer_load_dword v4, v44, s[0:3], 0 offen
	s_nop 0
	buffer_load_dword v5, v51, s[0:3], 0 offen
	s_nop 0
	buffer_store_dword v0, off, s[0:3], 0 offset:112
	buffer_store_dword v1, off, s[0:3], 0 offset:116
	s_waitcnt vmcnt(3)
	ds_swizzle_b32 v0, v4 offset:swizzle(SWAP,16)
	s_waitcnt vmcnt(2)
	ds_swizzle_b32 v1, v5 offset:swizzle(SWAP,8)
	s_waitcnt lgkmcnt(1)
	buffer_store_dword v0, v44, s[0:3], 0 offen
	s_waitcnt lgkmcnt(0)
	buffer_store_dword v1, v51, s[0:3], 0 offen
	buffer_load_dword v0, v45, s[0:3], 0 offen
	s_nop 0
	buffer_load_dword v1, v52, s[0:3], 0 offen
	s_waitcnt vmcnt(1)
	ds_swizzle_b32 v0, v0 offset:swizzle(SWAP,16)
	s_waitcnt vmcnt(0)
	ds_swizzle_b32 v1, v1 offset:swizzle(SWAP,8)
	s_waitcnt lgkmcnt(1)
	buffer_store_dword v0, v45, s[0:3], 0 offen
	s_waitcnt lgkmcnt(0)
	buffer_store_dword v1, v52, s[0:3], 0 offen
	buffer_load_dword v0, v46, s[0:3], 0 offen
	s_nop 0
	buffer_load_dword v1, v53, s[0:3], 0 offen
	s_nop 0
	buffer_store_dword v2, off, s[0:3], 0 offset:120
	buffer_store_dword v3, off, s[0:3], 0 offset:124
	s_waitcnt vmcnt(3)
	ds_swizzle_b32 v0, v0 offset:swizzle(SWAP,16)
	s_waitcnt vmcnt(2)
	ds_swizzle_b32 v1, v1 offset:swizzle(SWAP,8)
	s_waitcnt lgkmcnt(1)
	buffer_store_dword v0, v46, s[0:3], 0 offen
	s_waitcnt lgkmcnt(0)
	buffer_store_dword v1, v53, s[0:3], 0 offen
	buffer_load_dword v0, v47, s[0:3], 0 offen
	s_nop 0
	buffer_load_dword v1, v54, s[0:3], 0 offen
	buffer_load_dword v2, v65, s[0:3], 0 offen
	s_waitcnt vmcnt(2)
	ds_swizzle_b32 v0, v0 offset:swizzle(SWAP,16)
	s_waitcnt vmcnt(1)
	ds_swizzle_b32 v1, v1 offset:swizzle(SWAP,8)
	;; [unrolled: 2-line block ×3, first 2 shown]
	s_waitcnt lgkmcnt(2)
	buffer_store_dword v0, v47, s[0:3], 0 offen
	s_waitcnt lgkmcnt(1)
	buffer_store_dword v1, v54, s[0:3], 0 offen
	buffer_load_dword v0, v48, s[0:3], 0 offen
	s_nop 0
	buffer_load_dword v1, v55, s[0:3], 0 offen
	s_waitcnt vmcnt(1)
	ds_swizzle_b32 v0, v0 offset:swizzle(SWAP,16)
	s_waitcnt vmcnt(0)
	ds_swizzle_b32 v1, v1 offset:swizzle(SWAP,8)
	s_waitcnt lgkmcnt(2)
	buffer_store_dword v2, v65, s[0:3], 0 offen
	buffer_load_dword v2, v66, s[0:3], 0 offen
	s_waitcnt lgkmcnt(1)
	buffer_store_dword v0, v48, s[0:3], 0 offen
	s_waitcnt lgkmcnt(0)
	buffer_store_dword v1, v55, s[0:3], 0 offen
	buffer_load_dword v0, v57, s[0:3], 0 offen
	s_nop 0
	buffer_load_dword v1, v56, s[0:3], 0 offen
	s_waitcnt vmcnt(4)
	ds_swizzle_b32 v2, v2 offset:swizzle(SWAP,4)
	s_waitcnt vmcnt(1)
	ds_swizzle_b32 v0, v0 offset:swizzle(SWAP,8)
	;; [unrolled: 2-line block ×3, first 2 shown]
	s_waitcnt lgkmcnt(2)
	buffer_store_dword v2, v66, s[0:3], 0 offen
	buffer_load_dword v2, v67, s[0:3], 0 offen
	s_waitcnt lgkmcnt(1)
	buffer_store_dword v0, v57, s[0:3], 0 offen
	buffer_load_dword v0, v58, s[0:3], 0 offen
	s_waitcnt vmcnt(2)
	ds_swizzle_b32 v2, v2 offset:swizzle(SWAP,4)
	s_waitcnt lgkmcnt(1)
	buffer_store_dword v1, v56, s[0:3], 0 offen
	s_waitcnt lgkmcnt(0)
	buffer_store_dword v2, v67, s[0:3], 0 offen
	s_waitcnt vmcnt(2)
	ds_swizzle_b32 v0, v0 offset:swizzle(SWAP,8)
	buffer_load_dword v1, v68, s[0:3], 0 offen
	buffer_load_dword v2, v81, s[0:3], 0 offen
	s_waitcnt vmcnt(1)
	ds_swizzle_b32 v1, v1 offset:swizzle(SWAP,4)
	s_waitcnt lgkmcnt(1)
	buffer_store_dword v0, v58, s[0:3], 0 offen
	buffer_load_dword v0, v59, s[0:3], 0 offen
	s_waitcnt vmcnt(2)
	ds_swizzle_b32 v2, v2 offset:swizzle(SWAP,2)
	s_waitcnt lgkmcnt(1)
	buffer_store_dword v1, v68, s[0:3], 0 offen
	s_waitcnt lgkmcnt(0)
	buffer_store_dword v2, v81, s[0:3], 0 offen
	buffer_load_dword v1, v69, s[0:3], 0 offen
	s_nop 0
	buffer_load_dword v2, v82, s[0:3], 0 offen
	s_waitcnt vmcnt(4)
	ds_swizzle_b32 v0, v0 offset:swizzle(SWAP,8)
	s_waitcnt lgkmcnt(0)
	buffer_store_dword v0, v59, s[0:3], 0 offen
	buffer_load_dword v0, v60, s[0:3], 0 offen
	s_waitcnt vmcnt(3)
	ds_swizzle_b32 v1, v1 offset:swizzle(SWAP,4)
	s_waitcnt vmcnt(2)
	ds_swizzle_b32 v2, v2 offset:swizzle(SWAP,2)
	s_waitcnt lgkmcnt(1)
	buffer_store_dword v1, v69, s[0:3], 0 offen
	s_waitcnt lgkmcnt(0)
	buffer_store_dword v2, v82, s[0:3], 0 offen
	buffer_load_dword v1, v70, s[0:3], 0 offen
	s_nop 0
	buffer_load_dword v2, v83, s[0:3], 0 offen
	buffer_load_dword v3, v97, s[0:3], 0 offen
	s_waitcnt vmcnt(5)
	ds_swizzle_b32 v0, v0 offset:swizzle(SWAP,8)
	s_waitcnt lgkmcnt(0)
	buffer_store_dword v0, v60, s[0:3], 0 offen
	buffer_load_dword v0, v61, s[0:3], 0 offen
	s_waitcnt vmcnt(4)
	ds_swizzle_b32 v1, v1 offset:swizzle(SWAP,4)
	s_waitcnt vmcnt(3)
	ds_swizzle_b32 v2, v2 offset:swizzle(SWAP,2)
	s_waitcnt lgkmcnt(1)
	buffer_store_dword v1, v70, s[0:3], 0 offen
	s_waitcnt lgkmcnt(0)
	buffer_store_dword v2, v83, s[0:3], 0 offen
	buffer_load_dword v1, v71, s[0:3], 0 offen
	s_nop 0
	buffer_load_dword v2, v84, s[0:3], 0 offen
	buffer_load_dword v4, v98, s[0:3], 0 offen
	s_waitcnt vmcnt(7)
	ds_swizzle_b32 v3, v3 offset:swizzle(SWAP,1)
	s_waitcnt vmcnt(5)
	ds_swizzle_b32 v0, v0 offset:swizzle(SWAP,8)
	s_waitcnt lgkmcnt(0)
	buffer_store_dword v0, v61, s[0:3], 0 offen
	buffer_load_dword v0, v62, s[0:3], 0 offen
	s_waitcnt vmcnt(4)
	ds_swizzle_b32 v1, v1 offset:swizzle(SWAP,4)
	s_waitcnt vmcnt(3)
	ds_swizzle_b32 v2, v2 offset:swizzle(SWAP,2)
	s_waitcnt lgkmcnt(1)
	buffer_store_dword v1, v71, s[0:3], 0 offen
	s_waitcnt lgkmcnt(0)
	buffer_store_dword v2, v84, s[0:3], 0 offen
	buffer_load_dword v1, v72, s[0:3], 0 offen
	s_nop 0
	buffer_load_dword v2, v85, s[0:3], 0 offen
	buffer_load_dword v5, v99, s[0:3], 0 offen
	s_waitcnt vmcnt(5)
	ds_swizzle_b32 v0, v0 offset:swizzle(SWAP,8)
	s_waitcnt lgkmcnt(0)
	buffer_store_dword v0, v62, s[0:3], 0 offen
	buffer_load_dword v0, v63, s[0:3], 0 offen
	s_nop 0
	buffer_load_dword v6, v73, s[0:3], 0 offen
	s_waitcnt vmcnt(5)
	ds_swizzle_b32 v1, v1 offset:swizzle(SWAP,4)
	s_waitcnt vmcnt(4)
	ds_swizzle_b32 v2, v2 offset:swizzle(SWAP,2)
	s_waitcnt lgkmcnt(1)
	buffer_store_dword v1, v72, s[0:3], 0 offen
	s_waitcnt lgkmcnt(0)
	buffer_store_dword v2, v85, s[0:3], 0 offen
	buffer_load_dword v1, v86, s[0:3], 0 offen
	s_nop 0
	buffer_load_dword v2, v100, s[0:3], 0 offen
	s_waitcnt vmcnt(5)
	ds_swizzle_b32 v0, v0 offset:swizzle(SWAP,8)
	s_waitcnt vmcnt(4)
	ds_swizzle_b32 v6, v6 offset:swizzle(SWAP,4)
	s_waitcnt lgkmcnt(1)
	buffer_store_dword v0, v63, s[0:3], 0 offen
	;; [unrolled: 11-line block ×3, first 2 shown]
	buffer_load_dword v1, v87, s[0:3], 0 offen
	s_nop 0
	buffer_load_dword v7, v101, s[0:3], 0 offen
	s_waitcnt vmcnt(4)
	ds_swizzle_b32 v0, v0 offset:swizzle(SWAP,8)
	s_waitcnt vmcnt(3)
	ds_swizzle_b32 v6, v6 offset:swizzle(SWAP,4)
	s_waitcnt lgkmcnt(1)
	buffer_store_dword v0, v64, s[0:3], 0 offen
	s_waitcnt lgkmcnt(0)
	buffer_store_dword v6, v74, s[0:3], 0 offen
	buffer_load_dword v0, v75, s[0:3], 0 offen
	s_nop 0
	buffer_load_dword v6, v77, s[0:3], 0 offen
	s_waitcnt vmcnt(5)
	ds_swizzle_b32 v1, v1 offset:swizzle(SWAP,2)
	s_waitcnt lgkmcnt(0)
	buffer_store_dword v1, v87, s[0:3], 0 offen
	buffer_load_dword v1, v88, s[0:3], 0 offen
	s_nop 0
	buffer_load_dword v18, v102, s[0:3], 0 offen
	s_waitcnt vmcnt(4)
	ds_swizzle_b32 v0, v0 offset:swizzle(SWAP,4)
	s_waitcnt vmcnt(3)
	ds_swizzle_b32 v6, v6 offset:swizzle(SWAP,4)
	s_waitcnt lgkmcnt(1)
	buffer_store_dword v0, v75, s[0:3], 0 offen
	s_waitcnt lgkmcnt(0)
	buffer_store_dword v6, v77, s[0:3], 0 offen
	buffer_load_dword v0, v78, s[0:3], 0 offen
	s_nop 0
	buffer_load_dword v6, v76, s[0:3], 0 offen
	s_waitcnt vmcnt(5)
	ds_swizzle_b32 v1, v1 offset:swizzle(SWAP,2)
	s_waitcnt lgkmcnt(0)
	buffer_store_dword v1, v88, s[0:3], 0 offen
	buffer_load_dword v1, v89, s[0:3], 0 offen
	s_nop 0
	buffer_load_dword v20, v103, s[0:3], 0 offen
	s_waitcnt vmcnt(4)
	ds_swizzle_b32 v0, v0 offset:swizzle(SWAP,4)
	s_waitcnt vmcnt(3)
	ds_swizzle_b32 v6, v6 offset:swizzle(SWAP,4)
	s_waitcnt lgkmcnt(1)
	buffer_store_dword v0, v78, s[0:3], 0 offen
	buffer_load_dword v0, v79, s[0:3], 0 offen
	s_waitcnt vmcnt(3)
	ds_swizzle_b32 v1, v1 offset:swizzle(SWAP,2)
	s_waitcnt lgkmcnt(1)
	buffer_store_dword v6, v76, s[0:3], 0 offen
	s_waitcnt lgkmcnt(0)
	buffer_store_dword v1, v89, s[0:3], 0 offen
	buffer_load_dword v1, v90, s[0:3], 0 offen
	s_nop 0
	buffer_load_dword v6, v104, s[0:3], 0 offen
	s_waitcnt vmcnt(4)
	ds_swizzle_b32 v0, v0 offset:swizzle(SWAP,4)
	s_waitcnt lgkmcnt(0)
	buffer_store_dword v0, v79, s[0:3], 0 offen
	buffer_load_dword v0, v80, s[0:3], 0 offen
	s_nop 0
	buffer_load_dword v8, v91, s[0:3], 0 offen
	buffer_load_dword v10, v93, s[0:3], 0 offen
	s_waitcnt vmcnt(5)
	ds_swizzle_b32 v1, v1 offset:swizzle(SWAP,2)
	s_waitcnt lgkmcnt(0)
	buffer_store_dword v1, v90, s[0:3], 0 offen
	buffer_load_dword v1, v105, s[0:3], 0 offen
	s_waitcnt vmcnt(4)
	ds_swizzle_b32 v0, v0 offset:swizzle(SWAP,4)
	s_waitcnt vmcnt(3)
	ds_swizzle_b32 v8, v8 offset:swizzle(SWAP,2)
	;; [unrolled: 2-line block ×3, first 2 shown]
	s_waitcnt lgkmcnt(2)
	buffer_store_dword v0, v80, s[0:3], 0 offen
	s_waitcnt lgkmcnt(1)
	buffer_store_dword v8, v91, s[0:3], 0 offen
	;; [unrolled: 2-line block ×3, first 2 shown]
	buffer_load_dword v0, v95, s[0:3], 0 offen
	buffer_load_dword v12, v92, s[0:3], 0 offen
	;; [unrolled: 1-line block ×4, first 2 shown]
	s_waitcnt vmcnt(7)
	ds_swizzle_b32 v1, v1 offset:swizzle(SWAP,1)
	buffer_store_dword v3, v97, s[0:3], 0 offen
	ds_swizzle_b32 v3, v4 offset:swizzle(SWAP,1)
	s_waitcnt vmcnt(4)
	ds_swizzle_b32 v0, v0 offset:swizzle(SWAP,2)
	s_waitcnt vmcnt(2)
	ds_swizzle_b32 v4, v13 offset:swizzle(SWAP,2)
	s_waitcnt lgkmcnt(1)
	buffer_store_dword v0, v95, s[0:3], 0 offen
	buffer_load_dword v0, v96, s[0:3], 0 offen
	s_nop 0
	buffer_load_dword v8, off, s[0:3], 0
	buffer_load_dword v33, off, s[0:3], 0 offset:4
	s_waitcnt vmcnt(2)
	ds_swizzle_b32 v0, v0 offset:swizzle(SWAP,2)
	buffer_store_dword v3, v98, s[0:3], 0 offen
	ds_swizzle_b32 v3, v5 offset:swizzle(SWAP,1)
	buffer_load_dword v10, off, s[0:3], 0 offset:8
	buffer_load_dword v11, off, s[0:3], 0 offset:12
	s_waitcnt lgkmcnt(0)
	buffer_store_dword v3, v99, s[0:3], 0 offen
	ds_swizzle_b32 v3, v12 offset:swizzle(SWAP,2)
	s_waitcnt lgkmcnt(0)
	buffer_store_dword v3, v92, s[0:3], 0 offen
	buffer_store_dword v4, v94, s[0:3], 0 offen
	buffer_load_dword v3, v107, s[0:3], 0 offen
	s_nop 0
	buffer_load_dword v4, v108, s[0:3], 0 offen
	buffer_load_dword v5, v109, s[0:3], 0 offen
	;; [unrolled: 1-line block ×3, first 2 shown]
	s_nop 0
	buffer_store_dword v0, v96, s[0:3], 0 offen
	buffer_load_dword v0, v111, s[0:3], 0 offen
	s_nop 0
	buffer_load_dword v113, v112, s[0:3], 0 offen
	buffer_load_dword v12, off, s[0:3], 0 offset:16
	buffer_load_dword v13, off, s[0:3], 0 offset:20
	s_waitcnt vmcnt(3)
	ds_swizzle_b32 v0, v0 offset:swizzle(SWAP,1)
	buffer_store_dword v2, v100, s[0:3], 0 offen
	ds_swizzle_b32 v2, v7 offset:swizzle(SWAP,1)
	buffer_load_dword v14, off, s[0:3], 0 offset:24
	buffer_load_dword v15, off, s[0:3], 0 offset:28
	s_waitcnt lgkmcnt(0)
	buffer_store_dword v2, v101, s[0:3], 0 offen
	ds_swizzle_b32 v2, v18 offset:swizzle(SWAP,1)
	buffer_load_dword v16, off, s[0:3], 0 offset:32
	buffer_load_dword v17, off, s[0:3], 0 offset:36
	s_waitcnt lgkmcnt(0)
	;; [unrolled: 5-line block ×4, first 2 shown]
	buffer_store_dword v2, v104, s[0:3], 0 offen
	buffer_load_dword v22, off, s[0:3], 0 offset:56
	buffer_load_dword v23, off, s[0:3], 0 offset:60
	ds_swizzle_b32 v2, v4 offset:swizzle(SWAP,1)
	buffer_store_dword v1, v105, s[0:3], 0 offen
	ds_swizzle_b32 v1, v26 offset:swizzle(SWAP,1)
	buffer_load_dword v24, off, s[0:3], 0 offset:64
	buffer_load_dword v25, off, s[0:3], 0 offset:68
	ds_swizzle_b32 v4, v28 offset:swizzle(SWAP,1)
	s_waitcnt lgkmcnt(1)
	buffer_store_dword v1, v106, s[0:3], 0 offen
	ds_swizzle_b32 v1, v3 offset:swizzle(SWAP,1)
	ds_swizzle_b32 v3, v5 offset:swizzle(SWAP,1)
	buffer_load_dword v26, off, s[0:3], 0 offset:72
	buffer_load_dword v27, off, s[0:3], 0 offset:76
	s_waitcnt lgkmcnt(1)
	buffer_store_dword v1, v107, s[0:3], 0 offen
	buffer_store_dword v2, v108, s[0:3], 0 offen
	s_waitcnt lgkmcnt(0)
	buffer_store_dword v3, v109, s[0:3], 0 offen
	buffer_store_dword v4, v110, s[0:3], 0 offen
	s_waitcnt vmcnt(27)
	ds_swizzle_b32 v1, v113 offset:swizzle(SWAP,1)
	buffer_load_dword v28, off, s[0:3], 0 offset:80
	buffer_load_dword v29, off, s[0:3], 0 offset:84
	;; [unrolled: 1-line block ×8, first 2 shown]
	s_nop 0
	buffer_store_dword v0, v111, s[0:3], 0 offen
	s_waitcnt lgkmcnt(0)
	buffer_store_dword v1, v112, s[0:3], 0 offen
	buffer_load_dword v0, off, s[0:3], 0 offset:112
	s_nop 0
	buffer_load_dword v1, off, s[0:3], 0 offset:116
	buffer_load_dword v3, off, s[0:3], 0 offset:124
	;; [unrolled: 1-line block ×3, first 2 shown]
	; wave barrier
	s_cbranch_scc1 .LBB20_2
; %bb.3:
	v_mov_b32_e32 v9, v33
	s_branch .LBB20_5
.LBB20_4:
	v_pk_mov_b32 v[8:9], v[32:33], v[32:33] op_sel:[0,1]
.LBB20_5:
	s_load_dwordx2 s[4:5], s[4:5], 0x0
	v_lshl_or_b32 v32, s8, 13, v32
	v_mov_b32_e32 v33, 0
	v_lshlrev_b64 v[32:33], 2, v[32:33]
	s_waitcnt lgkmcnt(0)
	v_mov_b32_e32 v34, s5
	v_add_co_u32_e32 v32, vcc, s4, v32
	v_addc_co_u32_e32 v33, vcc, v34, v33, vcc
	global_store_dwordx4 v[32:33], v[8:11], off
	s_waitcnt vmcnt(37)
	global_store_dwordx4 v[32:33], v[12:15], off offset:16
	s_waitcnt vmcnt(32)
	global_store_dwordx4 v[32:33], v[16:19], off offset:32
	;; [unrolled: 2-line block ×7, first 2 shown]
	s_endpgm
	.section	.rodata,"a",@progbits
	.p2align	6, 0x0
	.amdhsa_kernel _Z20warp_exchange_kernelILj256ELj32ELj32EN6common25BlockedToStripedShuffleOpEiEvPT3_j
		.amdhsa_group_segment_fixed_size 0
		.amdhsa_private_segment_fixed_size 144
		.amdhsa_kernarg_size 12
		.amdhsa_user_sgpr_count 8
		.amdhsa_user_sgpr_private_segment_buffer 1
		.amdhsa_user_sgpr_dispatch_ptr 0
		.amdhsa_user_sgpr_queue_ptr 0
		.amdhsa_user_sgpr_kernarg_segment_ptr 1
		.amdhsa_user_sgpr_dispatch_id 0
		.amdhsa_user_sgpr_flat_scratch_init 1
		.amdhsa_user_sgpr_kernarg_preload_length 0
		.amdhsa_user_sgpr_kernarg_preload_offset 0
		.amdhsa_user_sgpr_private_segment_size 0
		.amdhsa_uses_dynamic_stack 0
		.amdhsa_system_sgpr_private_segment_wavefront_offset 1
		.amdhsa_system_sgpr_workgroup_id_x 1
		.amdhsa_system_sgpr_workgroup_id_y 0
		.amdhsa_system_sgpr_workgroup_id_z 0
		.amdhsa_system_sgpr_workgroup_info 0
		.amdhsa_system_vgpr_workitem_id 0
		.amdhsa_next_free_vgpr 114
		.amdhsa_next_free_sgpr 14
		.amdhsa_accum_offset 116
		.amdhsa_reserve_vcc 1
		.amdhsa_reserve_flat_scratch 0
		.amdhsa_float_round_mode_32 0
		.amdhsa_float_round_mode_16_64 0
		.amdhsa_float_denorm_mode_32 3
		.amdhsa_float_denorm_mode_16_64 3
		.amdhsa_dx10_clamp 1
		.amdhsa_ieee_mode 1
		.amdhsa_fp16_overflow 0
		.amdhsa_tg_split 0
		.amdhsa_exception_fp_ieee_invalid_op 0
		.amdhsa_exception_fp_denorm_src 0
		.amdhsa_exception_fp_ieee_div_zero 0
		.amdhsa_exception_fp_ieee_overflow 0
		.amdhsa_exception_fp_ieee_underflow 0
		.amdhsa_exception_fp_ieee_inexact 0
		.amdhsa_exception_int_div_zero 0
	.end_amdhsa_kernel
	.section	.text._Z20warp_exchange_kernelILj256ELj32ELj32EN6common25BlockedToStripedShuffleOpEiEvPT3_j,"axG",@progbits,_Z20warp_exchange_kernelILj256ELj32ELj32EN6common25BlockedToStripedShuffleOpEiEvPT3_j,comdat
.Lfunc_end20:
	.size	_Z20warp_exchange_kernelILj256ELj32ELj32EN6common25BlockedToStripedShuffleOpEiEvPT3_j, .Lfunc_end20-_Z20warp_exchange_kernelILj256ELj32ELj32EN6common25BlockedToStripedShuffleOpEiEvPT3_j
                                        ; -- End function
	.section	.AMDGPU.csdata,"",@progbits
; Kernel info:
; codeLenInByte = 4556
; NumSgprs: 18
; NumVgprs: 114
; NumAgprs: 0
; TotalNumVgprs: 114
; ScratchSize: 144
; MemoryBound: 0
; FloatMode: 240
; IeeeMode: 1
; LDSByteSize: 0 bytes/workgroup (compile time only)
; SGPRBlocks: 2
; VGPRBlocks: 14
; NumSGPRsForWavesPerEU: 18
; NumVGPRsForWavesPerEU: 114
; AccumOffset: 116
; Occupancy: 4
; WaveLimiterHint : 0
; COMPUTE_PGM_RSRC2:SCRATCH_EN: 1
; COMPUTE_PGM_RSRC2:USER_SGPR: 8
; COMPUTE_PGM_RSRC2:TRAP_HANDLER: 0
; COMPUTE_PGM_RSRC2:TGID_X_EN: 1
; COMPUTE_PGM_RSRC2:TGID_Y_EN: 0
; COMPUTE_PGM_RSRC2:TGID_Z_EN: 0
; COMPUTE_PGM_RSRC2:TIDIG_COMP_CNT: 0
; COMPUTE_PGM_RSRC3_GFX90A:ACCUM_OFFSET: 28
; COMPUTE_PGM_RSRC3_GFX90A:TG_SPLIT: 0
	.section	.text._Z20warp_exchange_kernelILj256ELj1ELj16EN6common25StripedToBlockedShuffleOpEiEvPT3_j,"axG",@progbits,_Z20warp_exchange_kernelILj256ELj1ELj16EN6common25StripedToBlockedShuffleOpEiEvPT3_j,comdat
	.protected	_Z20warp_exchange_kernelILj256ELj1ELj16EN6common25StripedToBlockedShuffleOpEiEvPT3_j ; -- Begin function _Z20warp_exchange_kernelILj256ELj1ELj16EN6common25StripedToBlockedShuffleOpEiEvPT3_j
	.globl	_Z20warp_exchange_kernelILj256ELj1ELj16EN6common25StripedToBlockedShuffleOpEiEvPT3_j
	.p2align	8
	.type	_Z20warp_exchange_kernelILj256ELj1ELj16EN6common25StripedToBlockedShuffleOpEiEvPT3_j,@function
_Z20warp_exchange_kernelILj256ELj1ELj16EN6common25StripedToBlockedShuffleOpEiEvPT3_j: ; @_Z20warp_exchange_kernelILj256ELj1ELj16EN6common25StripedToBlockedShuffleOpEiEvPT3_j
; %bb.0:
	s_load_dword s0, s[4:5], 0x8
	s_waitcnt lgkmcnt(0)
	s_cmp_eq_u32 s0, 0
	s_cbranch_scc1 .LBB21_3
; %bb.1:
	v_mbcnt_lo_u32_b32 v1, -1, 0
	v_mbcnt_hi_u32_b32 v1, -1, v1
	v_lshlrev_b32_e32 v2, 2, v1
	v_mov_b32_e32 v1, v0
.LBB21_2:                               ; =>This Inner Loop Header: Depth=1
	s_waitcnt lgkmcnt(0)
	ds_bpermute_b32 v1, v2, v1
	s_add_i32 s0, s0, -1
	s_cmp_lg_u32 s0, 0
	; wave barrier
	s_cbranch_scc1 .LBB21_2
	s_branch .LBB21_4
.LBB21_3:
	v_mov_b32_e32 v1, v0
.LBB21_4:
	s_load_dwordx2 s[0:1], s[4:5], 0x0
	v_lshl_or_b32 v2, s6, 8, v0
	v_mov_b32_e32 v3, 0
	v_lshlrev_b64 v[2:3], 2, v[2:3]
	s_waitcnt lgkmcnt(0)
	v_mov_b32_e32 v0, s1
	v_add_co_u32_e32 v2, vcc, s0, v2
	v_addc_co_u32_e32 v3, vcc, v0, v3, vcc
	global_store_dword v[2:3], v1, off
	s_endpgm
	.section	.rodata,"a",@progbits
	.p2align	6, 0x0
	.amdhsa_kernel _Z20warp_exchange_kernelILj256ELj1ELj16EN6common25StripedToBlockedShuffleOpEiEvPT3_j
		.amdhsa_group_segment_fixed_size 0
		.amdhsa_private_segment_fixed_size 0
		.amdhsa_kernarg_size 12
		.amdhsa_user_sgpr_count 6
		.amdhsa_user_sgpr_private_segment_buffer 1
		.amdhsa_user_sgpr_dispatch_ptr 0
		.amdhsa_user_sgpr_queue_ptr 0
		.amdhsa_user_sgpr_kernarg_segment_ptr 1
		.amdhsa_user_sgpr_dispatch_id 0
		.amdhsa_user_sgpr_flat_scratch_init 0
		.amdhsa_user_sgpr_kernarg_preload_length 0
		.amdhsa_user_sgpr_kernarg_preload_offset 0
		.amdhsa_user_sgpr_private_segment_size 0
		.amdhsa_uses_dynamic_stack 0
		.amdhsa_system_sgpr_private_segment_wavefront_offset 0
		.amdhsa_system_sgpr_workgroup_id_x 1
		.amdhsa_system_sgpr_workgroup_id_y 0
		.amdhsa_system_sgpr_workgroup_id_z 0
		.amdhsa_system_sgpr_workgroup_info 0
		.amdhsa_system_vgpr_workitem_id 0
		.amdhsa_next_free_vgpr 4
		.amdhsa_next_free_sgpr 7
		.amdhsa_accum_offset 4
		.amdhsa_reserve_vcc 1
		.amdhsa_reserve_flat_scratch 0
		.amdhsa_float_round_mode_32 0
		.amdhsa_float_round_mode_16_64 0
		.amdhsa_float_denorm_mode_32 3
		.amdhsa_float_denorm_mode_16_64 3
		.amdhsa_dx10_clamp 1
		.amdhsa_ieee_mode 1
		.amdhsa_fp16_overflow 0
		.amdhsa_tg_split 0
		.amdhsa_exception_fp_ieee_invalid_op 0
		.amdhsa_exception_fp_denorm_src 0
		.amdhsa_exception_fp_ieee_div_zero 0
		.amdhsa_exception_fp_ieee_overflow 0
		.amdhsa_exception_fp_ieee_underflow 0
		.amdhsa_exception_fp_ieee_inexact 0
		.amdhsa_exception_int_div_zero 0
	.end_amdhsa_kernel
	.section	.text._Z20warp_exchange_kernelILj256ELj1ELj16EN6common25StripedToBlockedShuffleOpEiEvPT3_j,"axG",@progbits,_Z20warp_exchange_kernelILj256ELj1ELj16EN6common25StripedToBlockedShuffleOpEiEvPT3_j,comdat
.Lfunc_end21:
	.size	_Z20warp_exchange_kernelILj256ELj1ELj16EN6common25StripedToBlockedShuffleOpEiEvPT3_j, .Lfunc_end21-_Z20warp_exchange_kernelILj256ELj1ELj16EN6common25StripedToBlockedShuffleOpEiEvPT3_j
                                        ; -- End function
	.section	.AMDGPU.csdata,"",@progbits
; Kernel info:
; codeLenInByte = 132
; NumSgprs: 11
; NumVgprs: 4
; NumAgprs: 0
; TotalNumVgprs: 4
; ScratchSize: 0
; MemoryBound: 0
; FloatMode: 240
; IeeeMode: 1
; LDSByteSize: 0 bytes/workgroup (compile time only)
; SGPRBlocks: 1
; VGPRBlocks: 0
; NumSGPRsForWavesPerEU: 11
; NumVGPRsForWavesPerEU: 4
; AccumOffset: 4
; Occupancy: 8
; WaveLimiterHint : 0
; COMPUTE_PGM_RSRC2:SCRATCH_EN: 0
; COMPUTE_PGM_RSRC2:USER_SGPR: 6
; COMPUTE_PGM_RSRC2:TRAP_HANDLER: 0
; COMPUTE_PGM_RSRC2:TGID_X_EN: 1
; COMPUTE_PGM_RSRC2:TGID_Y_EN: 0
; COMPUTE_PGM_RSRC2:TGID_Z_EN: 0
; COMPUTE_PGM_RSRC2:TIDIG_COMP_CNT: 0
; COMPUTE_PGM_RSRC3_GFX90A:ACCUM_OFFSET: 0
; COMPUTE_PGM_RSRC3_GFX90A:TG_SPLIT: 0
	.section	.text._Z20warp_exchange_kernelILj256ELj1ELj32EN6common25StripedToBlockedShuffleOpEiEvPT3_j,"axG",@progbits,_Z20warp_exchange_kernelILj256ELj1ELj32EN6common25StripedToBlockedShuffleOpEiEvPT3_j,comdat
	.protected	_Z20warp_exchange_kernelILj256ELj1ELj32EN6common25StripedToBlockedShuffleOpEiEvPT3_j ; -- Begin function _Z20warp_exchange_kernelILj256ELj1ELj32EN6common25StripedToBlockedShuffleOpEiEvPT3_j
	.globl	_Z20warp_exchange_kernelILj256ELj1ELj32EN6common25StripedToBlockedShuffleOpEiEvPT3_j
	.p2align	8
	.type	_Z20warp_exchange_kernelILj256ELj1ELj32EN6common25StripedToBlockedShuffleOpEiEvPT3_j,@function
_Z20warp_exchange_kernelILj256ELj1ELj32EN6common25StripedToBlockedShuffleOpEiEvPT3_j: ; @_Z20warp_exchange_kernelILj256ELj1ELj32EN6common25StripedToBlockedShuffleOpEiEvPT3_j
; %bb.0:
	s_load_dword s0, s[4:5], 0x8
	s_waitcnt lgkmcnt(0)
	s_cmp_eq_u32 s0, 0
	s_cbranch_scc1 .LBB22_3
; %bb.1:
	v_mbcnt_lo_u32_b32 v1, -1, 0
	v_mbcnt_hi_u32_b32 v1, -1, v1
	v_lshlrev_b32_e32 v2, 2, v1
	v_mov_b32_e32 v1, v0
.LBB22_2:                               ; =>This Inner Loop Header: Depth=1
	s_waitcnt lgkmcnt(0)
	ds_bpermute_b32 v1, v2, v1
	s_add_i32 s0, s0, -1
	s_cmp_lg_u32 s0, 0
	; wave barrier
	s_cbranch_scc1 .LBB22_2
	s_branch .LBB22_4
.LBB22_3:
	v_mov_b32_e32 v1, v0
.LBB22_4:
	s_load_dwordx2 s[0:1], s[4:5], 0x0
	v_lshl_or_b32 v2, s6, 8, v0
	v_mov_b32_e32 v3, 0
	v_lshlrev_b64 v[2:3], 2, v[2:3]
	s_waitcnt lgkmcnt(0)
	v_mov_b32_e32 v0, s1
	v_add_co_u32_e32 v2, vcc, s0, v2
	v_addc_co_u32_e32 v3, vcc, v0, v3, vcc
	global_store_dword v[2:3], v1, off
	s_endpgm
	.section	.rodata,"a",@progbits
	.p2align	6, 0x0
	.amdhsa_kernel _Z20warp_exchange_kernelILj256ELj1ELj32EN6common25StripedToBlockedShuffleOpEiEvPT3_j
		.amdhsa_group_segment_fixed_size 0
		.amdhsa_private_segment_fixed_size 0
		.amdhsa_kernarg_size 12
		.amdhsa_user_sgpr_count 6
		.amdhsa_user_sgpr_private_segment_buffer 1
		.amdhsa_user_sgpr_dispatch_ptr 0
		.amdhsa_user_sgpr_queue_ptr 0
		.amdhsa_user_sgpr_kernarg_segment_ptr 1
		.amdhsa_user_sgpr_dispatch_id 0
		.amdhsa_user_sgpr_flat_scratch_init 0
		.amdhsa_user_sgpr_kernarg_preload_length 0
		.amdhsa_user_sgpr_kernarg_preload_offset 0
		.amdhsa_user_sgpr_private_segment_size 0
		.amdhsa_uses_dynamic_stack 0
		.amdhsa_system_sgpr_private_segment_wavefront_offset 0
		.amdhsa_system_sgpr_workgroup_id_x 1
		.amdhsa_system_sgpr_workgroup_id_y 0
		.amdhsa_system_sgpr_workgroup_id_z 0
		.amdhsa_system_sgpr_workgroup_info 0
		.amdhsa_system_vgpr_workitem_id 0
		.amdhsa_next_free_vgpr 4
		.amdhsa_next_free_sgpr 7
		.amdhsa_accum_offset 4
		.amdhsa_reserve_vcc 1
		.amdhsa_reserve_flat_scratch 0
		.amdhsa_float_round_mode_32 0
		.amdhsa_float_round_mode_16_64 0
		.amdhsa_float_denorm_mode_32 3
		.amdhsa_float_denorm_mode_16_64 3
		.amdhsa_dx10_clamp 1
		.amdhsa_ieee_mode 1
		.amdhsa_fp16_overflow 0
		.amdhsa_tg_split 0
		.amdhsa_exception_fp_ieee_invalid_op 0
		.amdhsa_exception_fp_denorm_src 0
		.amdhsa_exception_fp_ieee_div_zero 0
		.amdhsa_exception_fp_ieee_overflow 0
		.amdhsa_exception_fp_ieee_underflow 0
		.amdhsa_exception_fp_ieee_inexact 0
		.amdhsa_exception_int_div_zero 0
	.end_amdhsa_kernel
	.section	.text._Z20warp_exchange_kernelILj256ELj1ELj32EN6common25StripedToBlockedShuffleOpEiEvPT3_j,"axG",@progbits,_Z20warp_exchange_kernelILj256ELj1ELj32EN6common25StripedToBlockedShuffleOpEiEvPT3_j,comdat
.Lfunc_end22:
	.size	_Z20warp_exchange_kernelILj256ELj1ELj32EN6common25StripedToBlockedShuffleOpEiEvPT3_j, .Lfunc_end22-_Z20warp_exchange_kernelILj256ELj1ELj32EN6common25StripedToBlockedShuffleOpEiEvPT3_j
                                        ; -- End function
	.section	.AMDGPU.csdata,"",@progbits
; Kernel info:
; codeLenInByte = 132
; NumSgprs: 11
; NumVgprs: 4
; NumAgprs: 0
; TotalNumVgprs: 4
; ScratchSize: 0
; MemoryBound: 0
; FloatMode: 240
; IeeeMode: 1
; LDSByteSize: 0 bytes/workgroup (compile time only)
; SGPRBlocks: 1
; VGPRBlocks: 0
; NumSGPRsForWavesPerEU: 11
; NumVGPRsForWavesPerEU: 4
; AccumOffset: 4
; Occupancy: 8
; WaveLimiterHint : 0
; COMPUTE_PGM_RSRC2:SCRATCH_EN: 0
; COMPUTE_PGM_RSRC2:USER_SGPR: 6
; COMPUTE_PGM_RSRC2:TRAP_HANDLER: 0
; COMPUTE_PGM_RSRC2:TGID_X_EN: 1
; COMPUTE_PGM_RSRC2:TGID_Y_EN: 0
; COMPUTE_PGM_RSRC2:TGID_Z_EN: 0
; COMPUTE_PGM_RSRC2:TIDIG_COMP_CNT: 0
; COMPUTE_PGM_RSRC3_GFX90A:ACCUM_OFFSET: 0
; COMPUTE_PGM_RSRC3_GFX90A:TG_SPLIT: 0
	.section	.text._Z20warp_exchange_kernelILj256ELj4ELj16EN6common25StripedToBlockedShuffleOpEiEvPT3_j,"axG",@progbits,_Z20warp_exchange_kernelILj256ELj4ELj16EN6common25StripedToBlockedShuffleOpEiEvPT3_j,comdat
	.protected	_Z20warp_exchange_kernelILj256ELj4ELj16EN6common25StripedToBlockedShuffleOpEiEvPT3_j ; -- Begin function _Z20warp_exchange_kernelILj256ELj4ELj16EN6common25StripedToBlockedShuffleOpEiEvPT3_j
	.globl	_Z20warp_exchange_kernelILj256ELj4ELj16EN6common25StripedToBlockedShuffleOpEiEvPT3_j
	.p2align	8
	.type	_Z20warp_exchange_kernelILj256ELj4ELj16EN6common25StripedToBlockedShuffleOpEiEvPT3_j,@function
_Z20warp_exchange_kernelILj256ELj4ELj16EN6common25StripedToBlockedShuffleOpEiEvPT3_j: ; @_Z20warp_exchange_kernelILj256ELj4ELj16EN6common25StripedToBlockedShuffleOpEiEvPT3_j
; %bb.0:
	s_load_dword s7, s[4:5], 0x8
	v_lshlrev_b32_e32 v0, 2, v0
	v_or_b32_e32 v1, 1, v0
	v_or_b32_e32 v2, 2, v0
	;; [unrolled: 1-line block ×3, first 2 shown]
	s_waitcnt lgkmcnt(0)
	s_cmp_eq_u32 s7, 0
	s_cbranch_scc1 .LBB23_4
; %bb.1:
	v_mbcnt_lo_u32_b32 v4, -1, 0
	v_mbcnt_hi_u32_b32 v9, -1, v4
	v_and_b32_e32 v4, 0x70, v9
	v_add_u32_e32 v5, 12, v9
	v_add_u32_e32 v7, 4, v9
	v_and_or_b32 v5, v5, 15, v4
	v_and_or_b32 v4, v7, 15, v4
	v_lshlrev_b32_e32 v7, 2, v4
	v_bfe_u32 v4, v9, 2, 2
	v_xor_b32_e32 v10, 2, v4
	v_add_u32_e32 v11, -1, v10
	v_and_b32_e32 v12, 3, v11
	v_and_b32_e32 v11, 3, v9
	v_lshlrev_b32_e32 v6, 2, v9
	v_lshrrev_b32_e32 v8, 2, v9
	v_add_u32_e32 v9, -1, v9
	v_xor_b32_e32 v16, 2, v11
	v_add_u32_e32 v8, -1, v8
	v_and_b32_e32 v14, 3, v9
	v_add_u32_e32 v9, -1, v16
	v_and_b32_e32 v8, 3, v8
	v_and_b32_e32 v18, 3, v9
	v_lshlrev_b32_e32 v5, 2, v5
	v_xor_b32_e32 v6, 32, v6
	v_cmp_eq_u32_e32 vcc, 1, v4
	v_cmp_eq_u32_e64 s[0:1], 2, v4
	v_cmp_eq_u32_e64 s[2:3], 3, v4
	;; [unrolled: 1-line block ×26, first 2 shown]
	v_mov_b32_e32 v4, v0
.LBB23_2:                               ; =>This Inner Loop Header: Depth=1
	ds_bpermute_b32 v8, v5, v1
	ds_bpermute_b32 v9, v6, v2
	;; [unrolled: 1-line block ×3, first 2 shown]
	v_cndmask_b32_e32 v1, v1, v4, vcc
	v_cndmask_b32_e64 v2, v2, v4, s[0:1]
	s_waitcnt lgkmcnt(2)
	v_cndmask_b32_e64 v1, v1, v8, s[10:11]
	v_cndmask_b32_e64 v3, v3, v4, s[2:3]
	v_cndmask_b32_e64 v2, v2, v8, s[8:9]
	s_waitcnt lgkmcnt(1)
	v_cndmask_b32_e64 v1, v1, v9, s[14:15]
	v_cndmask_b32_e64 v3, v3, v8, s[56:57]
	;; [unrolled: 4-line block ×3, first 2 shown]
	v_cndmask_b32_e64 v2, v2, v10, s[24:25]
	ds_bpermute_b32 v1, v7, v1
	v_cndmask_b32_e64 v3, v3, v10, s[22:23]
	ds_bpermute_b32 v2, v6, v2
	ds_bpermute_b32 v3, v5, v3
	v_cndmask_b32_e64 v4, v4, v8, s[12:13]
	v_cndmask_b32_e64 v4, v4, v9, s[20:21]
	;; [unrolled: 1-line block ×3, first 2 shown]
	s_waitcnt lgkmcnt(2)
	v_mov_b32_dpp v1, v1 quad_perm:[3,0,1,2] row_mask:0xf bank_mask:0xf
	s_waitcnt lgkmcnt(1)
	v_mov_b32_dpp v2, v2 quad_perm:[2,3,0,1] row_mask:0xf bank_mask:0xf
	v_cndmask_b32_e64 v8, v4, v1, s[30:31]
	v_cndmask_b32_e64 v9, v4, v1, s[34:35]
	;; [unrolled: 1-line block ×4, first 2 shown]
	s_waitcnt lgkmcnt(0)
	v_mov_b32_dpp v3, v3 quad_perm:[1,2,3,0] row_mask:0xf bank_mask:0xf
	v_cndmask_b32_e64 v1, v1, v2, s[40:41]
	v_cndmask_b32_e64 v10, v10, v2, s[42:43]
	;; [unrolled: 1-line block ×8, first 2 shown]
	s_add_i32 s7, s7, -1
	v_mov_b32_dpp v2, v2 quad_perm:[2,3,0,1] row_mask:0xf bank_mask:0xf
	v_mov_b32_dpp v1, v1 quad_perm:[1,2,3,0] row_mask:0xf bank_mask:0xf
	;; [unrolled: 1-line block ×3, first 2 shown]
	s_cmp_lg_u32 s7, 0
	; wave barrier
	s_cbranch_scc1 .LBB23_2
; %bb.3:
	v_mov_b32_e32 v5, v1
	v_mov_b32_e32 v6, v2
	;; [unrolled: 1-line block ×3, first 2 shown]
	s_branch .LBB23_5
.LBB23_4:
	v_pk_mov_b32 v[6:7], v[2:3], v[2:3] op_sel:[0,1]
	v_pk_mov_b32 v[4:5], v[0:1], v[0:1] op_sel:[0,1]
.LBB23_5:
	s_load_dwordx2 s[0:1], s[4:5], 0x0
	v_lshl_or_b32 v0, s6, 10, v0
	v_mov_b32_e32 v1, 0
	v_lshlrev_b64 v[0:1], 2, v[0:1]
	s_waitcnt lgkmcnt(0)
	v_mov_b32_e32 v2, s1
	v_add_co_u32_e32 v0, vcc, s0, v0
	v_addc_co_u32_e32 v1, vcc, v2, v1, vcc
	global_store_dwordx4 v[0:1], v[4:7], off
	s_endpgm
	.section	.rodata,"a",@progbits
	.p2align	6, 0x0
	.amdhsa_kernel _Z20warp_exchange_kernelILj256ELj4ELj16EN6common25StripedToBlockedShuffleOpEiEvPT3_j
		.amdhsa_group_segment_fixed_size 0
		.amdhsa_private_segment_fixed_size 0
		.amdhsa_kernarg_size 12
		.amdhsa_user_sgpr_count 6
		.amdhsa_user_sgpr_private_segment_buffer 1
		.amdhsa_user_sgpr_dispatch_ptr 0
		.amdhsa_user_sgpr_queue_ptr 0
		.amdhsa_user_sgpr_kernarg_segment_ptr 1
		.amdhsa_user_sgpr_dispatch_id 0
		.amdhsa_user_sgpr_flat_scratch_init 0
		.amdhsa_user_sgpr_kernarg_preload_length 0
		.amdhsa_user_sgpr_kernarg_preload_offset 0
		.amdhsa_user_sgpr_private_segment_size 0
		.amdhsa_uses_dynamic_stack 0
		.amdhsa_system_sgpr_private_segment_wavefront_offset 0
		.amdhsa_system_sgpr_workgroup_id_x 1
		.amdhsa_system_sgpr_workgroup_id_y 0
		.amdhsa_system_sgpr_workgroup_id_z 0
		.amdhsa_system_sgpr_workgroup_info 0
		.amdhsa_system_vgpr_workitem_id 0
		.amdhsa_next_free_vgpr 19
		.amdhsa_next_free_sgpr 58
		.amdhsa_accum_offset 20
		.amdhsa_reserve_vcc 1
		.amdhsa_reserve_flat_scratch 0
		.amdhsa_float_round_mode_32 0
		.amdhsa_float_round_mode_16_64 0
		.amdhsa_float_denorm_mode_32 3
		.amdhsa_float_denorm_mode_16_64 3
		.amdhsa_dx10_clamp 1
		.amdhsa_ieee_mode 1
		.amdhsa_fp16_overflow 0
		.amdhsa_tg_split 0
		.amdhsa_exception_fp_ieee_invalid_op 0
		.amdhsa_exception_fp_denorm_src 0
		.amdhsa_exception_fp_ieee_div_zero 0
		.amdhsa_exception_fp_ieee_overflow 0
		.amdhsa_exception_fp_ieee_underflow 0
		.amdhsa_exception_fp_ieee_inexact 0
		.amdhsa_exception_int_div_zero 0
	.end_amdhsa_kernel
	.section	.text._Z20warp_exchange_kernelILj256ELj4ELj16EN6common25StripedToBlockedShuffleOpEiEvPT3_j,"axG",@progbits,_Z20warp_exchange_kernelILj256ELj4ELj16EN6common25StripedToBlockedShuffleOpEiEvPT3_j,comdat
.Lfunc_end23:
	.size	_Z20warp_exchange_kernelILj256ELj4ELj16EN6common25StripedToBlockedShuffleOpEiEvPT3_j, .Lfunc_end23-_Z20warp_exchange_kernelILj256ELj4ELj16EN6common25StripedToBlockedShuffleOpEiEvPT3_j
                                        ; -- End function
	.section	.AMDGPU.csdata,"",@progbits
; Kernel info:
; codeLenInByte = 804
; NumSgprs: 62
; NumVgprs: 19
; NumAgprs: 0
; TotalNumVgprs: 19
; ScratchSize: 0
; MemoryBound: 0
; FloatMode: 240
; IeeeMode: 1
; LDSByteSize: 0 bytes/workgroup (compile time only)
; SGPRBlocks: 7
; VGPRBlocks: 2
; NumSGPRsForWavesPerEU: 62
; NumVGPRsForWavesPerEU: 19
; AccumOffset: 20
; Occupancy: 8
; WaveLimiterHint : 0
; COMPUTE_PGM_RSRC2:SCRATCH_EN: 0
; COMPUTE_PGM_RSRC2:USER_SGPR: 6
; COMPUTE_PGM_RSRC2:TRAP_HANDLER: 0
; COMPUTE_PGM_RSRC2:TGID_X_EN: 1
; COMPUTE_PGM_RSRC2:TGID_Y_EN: 0
; COMPUTE_PGM_RSRC2:TGID_Z_EN: 0
; COMPUTE_PGM_RSRC2:TIDIG_COMP_CNT: 0
; COMPUTE_PGM_RSRC3_GFX90A:ACCUM_OFFSET: 4
; COMPUTE_PGM_RSRC3_GFX90A:TG_SPLIT: 0
	.section	.text._Z20warp_exchange_kernelILj256ELj4ELj32EN6common25StripedToBlockedShuffleOpEiEvPT3_j,"axG",@progbits,_Z20warp_exchange_kernelILj256ELj4ELj32EN6common25StripedToBlockedShuffleOpEiEvPT3_j,comdat
	.protected	_Z20warp_exchange_kernelILj256ELj4ELj32EN6common25StripedToBlockedShuffleOpEiEvPT3_j ; -- Begin function _Z20warp_exchange_kernelILj256ELj4ELj32EN6common25StripedToBlockedShuffleOpEiEvPT3_j
	.globl	_Z20warp_exchange_kernelILj256ELj4ELj32EN6common25StripedToBlockedShuffleOpEiEvPT3_j
	.p2align	8
	.type	_Z20warp_exchange_kernelILj256ELj4ELj32EN6common25StripedToBlockedShuffleOpEiEvPT3_j,@function
_Z20warp_exchange_kernelILj256ELj4ELj32EN6common25StripedToBlockedShuffleOpEiEvPT3_j: ; @_Z20warp_exchange_kernelILj256ELj4ELj32EN6common25StripedToBlockedShuffleOpEiEvPT3_j
; %bb.0:
	s_load_dword s7, s[4:5], 0x8
	v_lshlrev_b32_e32 v0, 2, v0
	v_or_b32_e32 v1, 1, v0
	v_or_b32_e32 v2, 2, v0
	;; [unrolled: 1-line block ×3, first 2 shown]
	s_waitcnt lgkmcnt(0)
	s_cmp_eq_u32 s7, 0
	s_cbranch_scc1 .LBB24_4
; %bb.1:
	v_mbcnt_lo_u32_b32 v4, -1, 0
	v_mbcnt_hi_u32_b32 v4, -1, v4
	v_lshlrev_b32_e32 v5, 2, v4
	v_and_b32_e32 v6, 0x60, v4
	v_and_or_b32 v5, v5, 28, v6
	v_bfe_u32 v4, v4, 3, 2
	v_lshlrev_b32_e32 v5, 2, v5
	v_cmp_eq_u32_e32 vcc, 3, v4
	v_cmp_eq_u32_e64 s[0:1], 2, v4
	v_cmp_eq_u32_e64 s[2:3], 1, v4
	v_or_b32_e32 v6, 4, v5
	v_or_b32_e32 v7, 8, v5
	;; [unrolled: 1-line block ×3, first 2 shown]
	v_mov_b32_e32 v4, v0
.LBB24_2:                               ; =>This Inner Loop Header: Depth=1
	v_mov_b32_e32 v9, v1
	v_mov_b32_e32 v10, v4
	ds_bpermute_b32 v1, v5, v4
	ds_bpermute_b32 v4, v5, v9
	;; [unrolled: 1-line block ×6, first 2 shown]
	s_waitcnt lgkmcnt(4)
	v_cndmask_b32_e64 v1, v1, v4, s[2:3]
	s_waitcnt lgkmcnt(3)
	v_cndmask_b32_e64 v1, v1, v11, s[0:1]
	ds_bpermute_b32 v4, v5, v3
	ds_bpermute_b32 v11, v6, v10
	;; [unrolled: 1-line block ×5, first 2 shown]
	s_waitcnt lgkmcnt(4)
	v_cndmask_b32_e32 v4, v1, v4, vcc
	s_waitcnt lgkmcnt(3)
	v_cndmask_b32_e64 v1, v11, v12, s[2:3]
	v_cndmask_b32_e64 v1, v1, v13, s[0:1]
	ds_bpermute_b32 v9, v8, v9
	v_cndmask_b32_e32 v1, v1, v14, vcc
	ds_bpermute_b32 v12, v7, v2
	ds_bpermute_b32 v14, v8, v2
	;; [unrolled: 1-line block ×4, first 2 shown]
	s_waitcnt lgkmcnt(6)
	v_cndmask_b32_e64 v11, v15, v16, s[2:3]
	s_waitcnt lgkmcnt(4)
	v_cndmask_b32_e64 v9, v10, v9, s[2:3]
	;; [unrolled: 2-line block ×4, first 2 shown]
	s_add_i32 s7, s7, -1
	s_waitcnt lgkmcnt(1)
	v_cndmask_b32_e32 v2, v2, v13, vcc
	s_waitcnt lgkmcnt(0)
	v_cndmask_b32_e32 v3, v9, v3, vcc
	s_cmp_lg_u32 s7, 0
	; wave barrier
	s_cbranch_scc1 .LBB24_2
; %bb.3:
	v_mov_b32_e32 v5, v1
	v_mov_b32_e32 v6, v2
	;; [unrolled: 1-line block ×3, first 2 shown]
	s_branch .LBB24_5
.LBB24_4:
	v_pk_mov_b32 v[6:7], v[2:3], v[2:3] op_sel:[0,1]
	v_pk_mov_b32 v[4:5], v[0:1], v[0:1] op_sel:[0,1]
.LBB24_5:
	s_load_dwordx2 s[0:1], s[4:5], 0x0
	v_lshl_or_b32 v0, s6, 10, v0
	v_mov_b32_e32 v1, 0
	v_lshlrev_b64 v[0:1], 2, v[0:1]
	s_waitcnt lgkmcnt(0)
	v_mov_b32_e32 v2, s1
	v_add_co_u32_e32 v0, vcc, s0, v0
	v_addc_co_u32_e32 v1, vcc, v2, v1, vcc
	global_store_dwordx4 v[0:1], v[4:7], off
	s_endpgm
	.section	.rodata,"a",@progbits
	.p2align	6, 0x0
	.amdhsa_kernel _Z20warp_exchange_kernelILj256ELj4ELj32EN6common25StripedToBlockedShuffleOpEiEvPT3_j
		.amdhsa_group_segment_fixed_size 0
		.amdhsa_private_segment_fixed_size 0
		.amdhsa_kernarg_size 12
		.amdhsa_user_sgpr_count 6
		.amdhsa_user_sgpr_private_segment_buffer 1
		.amdhsa_user_sgpr_dispatch_ptr 0
		.amdhsa_user_sgpr_queue_ptr 0
		.amdhsa_user_sgpr_kernarg_segment_ptr 1
		.amdhsa_user_sgpr_dispatch_id 0
		.amdhsa_user_sgpr_flat_scratch_init 0
		.amdhsa_user_sgpr_kernarg_preload_length 0
		.amdhsa_user_sgpr_kernarg_preload_offset 0
		.amdhsa_user_sgpr_private_segment_size 0
		.amdhsa_uses_dynamic_stack 0
		.amdhsa_system_sgpr_private_segment_wavefront_offset 0
		.amdhsa_system_sgpr_workgroup_id_x 1
		.amdhsa_system_sgpr_workgroup_id_y 0
		.amdhsa_system_sgpr_workgroup_id_z 0
		.amdhsa_system_sgpr_workgroup_info 0
		.amdhsa_system_vgpr_workitem_id 0
		.amdhsa_next_free_vgpr 17
		.amdhsa_next_free_sgpr 8
		.amdhsa_accum_offset 20
		.amdhsa_reserve_vcc 1
		.amdhsa_reserve_flat_scratch 0
		.amdhsa_float_round_mode_32 0
		.amdhsa_float_round_mode_16_64 0
		.amdhsa_float_denorm_mode_32 3
		.amdhsa_float_denorm_mode_16_64 3
		.amdhsa_dx10_clamp 1
		.amdhsa_ieee_mode 1
		.amdhsa_fp16_overflow 0
		.amdhsa_tg_split 0
		.amdhsa_exception_fp_ieee_invalid_op 0
		.amdhsa_exception_fp_denorm_src 0
		.amdhsa_exception_fp_ieee_div_zero 0
		.amdhsa_exception_fp_ieee_overflow 0
		.amdhsa_exception_fp_ieee_underflow 0
		.amdhsa_exception_fp_ieee_inexact 0
		.amdhsa_exception_int_div_zero 0
	.end_amdhsa_kernel
	.section	.text._Z20warp_exchange_kernelILj256ELj4ELj32EN6common25StripedToBlockedShuffleOpEiEvPT3_j,"axG",@progbits,_Z20warp_exchange_kernelILj256ELj4ELj32EN6common25StripedToBlockedShuffleOpEiEvPT3_j,comdat
.Lfunc_end24:
	.size	_Z20warp_exchange_kernelILj256ELj4ELj32EN6common25StripedToBlockedShuffleOpEiEvPT3_j, .Lfunc_end24-_Z20warp_exchange_kernelILj256ELj4ELj32EN6common25StripedToBlockedShuffleOpEiEvPT3_j
                                        ; -- End function
	.section	.AMDGPU.csdata,"",@progbits
; Kernel info:
; codeLenInByte = 476
; NumSgprs: 12
; NumVgprs: 17
; NumAgprs: 0
; TotalNumVgprs: 17
; ScratchSize: 0
; MemoryBound: 0
; FloatMode: 240
; IeeeMode: 1
; LDSByteSize: 0 bytes/workgroup (compile time only)
; SGPRBlocks: 1
; VGPRBlocks: 2
; NumSGPRsForWavesPerEU: 12
; NumVGPRsForWavesPerEU: 17
; AccumOffset: 20
; Occupancy: 8
; WaveLimiterHint : 0
; COMPUTE_PGM_RSRC2:SCRATCH_EN: 0
; COMPUTE_PGM_RSRC2:USER_SGPR: 6
; COMPUTE_PGM_RSRC2:TRAP_HANDLER: 0
; COMPUTE_PGM_RSRC2:TGID_X_EN: 1
; COMPUTE_PGM_RSRC2:TGID_Y_EN: 0
; COMPUTE_PGM_RSRC2:TGID_Z_EN: 0
; COMPUTE_PGM_RSRC2:TIDIG_COMP_CNT: 0
; COMPUTE_PGM_RSRC3_GFX90A:ACCUM_OFFSET: 4
; COMPUTE_PGM_RSRC3_GFX90A:TG_SPLIT: 0
	.section	.text._Z20warp_exchange_kernelILj256ELj16ELj16EN6common25StripedToBlockedShuffleOpEiEvPT3_j,"axG",@progbits,_Z20warp_exchange_kernelILj256ELj16ELj16EN6common25StripedToBlockedShuffleOpEiEvPT3_j,comdat
	.protected	_Z20warp_exchange_kernelILj256ELj16ELj16EN6common25StripedToBlockedShuffleOpEiEvPT3_j ; -- Begin function _Z20warp_exchange_kernelILj256ELj16ELj16EN6common25StripedToBlockedShuffleOpEiEvPT3_j
	.globl	_Z20warp_exchange_kernelILj256ELj16ELj16EN6common25StripedToBlockedShuffleOpEiEvPT3_j
	.p2align	8
	.type	_Z20warp_exchange_kernelILj256ELj16ELj16EN6common25StripedToBlockedShuffleOpEiEvPT3_j,@function
_Z20warp_exchange_kernelILj256ELj16ELj16EN6common25StripedToBlockedShuffleOpEiEvPT3_j: ; @_Z20warp_exchange_kernelILj256ELj16ELj16EN6common25StripedToBlockedShuffleOpEiEvPT3_j
; %bb.0:
	s_load_dword s6, s[4:5], 0x8
	s_add_u32 s0, s0, s9
	s_addc_u32 s1, s1, 0
	v_lshlrev_b32_e32 v16, 4, v0
	v_or_b32_e32 v17, 1, v16
	v_or_b32_e32 v7, 3, v16
	;; [unrolled: 1-line block ×14, first 2 shown]
	s_waitcnt lgkmcnt(0)
	s_cmp_eq_u32 s6, 0
	v_or_b32_e32 v2, 14, v16
	s_cbranch_scc1 .LBB25_4
; %bb.1:
	v_mbcnt_lo_u32_b32 v4, -1, 0
	v_mbcnt_hi_u32_b32 v4, -1, v4
	v_and_b32_e32 v5, 8, v4
	v_lshlrev_b32_e32 v18, 2, v5
	v_cmp_eq_u32_e32 vcc, 0, v5
	v_and_b32_e32 v5, 4, v4
	v_cndmask_b32_e64 v19, 4, 36, vcc
	v_cndmask_b32_e64 v20, 8, 40, vcc
	;; [unrolled: 1-line block ×7, first 2 shown]
	v_lshlrev_b32_e32 v26, 2, v5
	v_cmp_eq_u32_e32 vcc, 0, v5
	v_and_b32_e32 v5, 2, v4
	v_cndmask_b32_e64 v27, 4, 20, vcc
	v_cndmask_b32_e64 v28, 8, 24, vcc
	;; [unrolled: 1-line block ×7, first 2 shown]
	v_cmp_eq_u32_e32 vcc, 0, v5
	v_and_b32_e32 v4, 1, v4
	v_lshlrev_b32_e32 v34, 2, v5
	v_cndmask_b32_e64 v35, 4, 12, vcc
	v_cndmask_b32_e64 v36, 16, 24, vcc
	;; [unrolled: 1-line block ×7, first 2 shown]
	v_lshlrev_b32_e32 v5, 2, v4
	v_cmp_eq_u32_e32 vcc, 0, v4
	v_xor_b32_e32 v18, 32, v18
	v_xor_b32_e32 v26, 16, v26
	;; [unrolled: 1-line block ×4, first 2 shown]
	v_cndmask_b32_e64 v4, 8, 12, vcc
	v_cndmask_b32_e64 v43, 16, 20, vcc
	;; [unrolled: 1-line block ×7, first 2 shown]
	v_add_u32_e32 v5, 0, v18
	v_add_u32_e32 v18, 0, v19
	;; [unrolled: 1-line block ×16, first 2 shown]
	v_or_b32_e32 v33, 0, v34
	v_or_b32_e32 v34, 0, v35
	v_add_u32_e32 v35, 0, v36
	v_add_u32_e32 v36, 0, v37
	;; [unrolled: 1-line block ×6, first 2 shown]
	v_or_b32_e32 v41, 0, v42
	v_or_b32_e32 v42, 0, v4
	v_add_u32_e32 v43, 0, v43
	v_add_u32_e32 v44, 0, v44
	;; [unrolled: 1-line block ×6, first 2 shown]
	v_mov_b32_e32 v4, v16
.LBB25_2:                               ; =>This Inner Loop Header: Depth=1
	s_waitcnt vmcnt(22)
	buffer_store_dword v4, off, s[0:3], 0
	s_waitcnt vmcnt(22)
	buffer_store_dword v17, off, s[0:3], 0 offset:4
	s_waitcnt vmcnt(20)
	buffer_store_dword v7, off, s[0:3], 0 offset:12
	buffer_store_dword v6, off, s[0:3], 0 offset:8
	s_waitcnt vmcnt(20)
	buffer_store_dword v8, off, s[0:3], 0 offset:16
	s_waitcnt vmcnt(20)
	;; [unrolled: 2-line block ×3, first 2 shown]
	buffer_store_dword v11, off, s[0:3], 0 offset:28
	buffer_store_dword v10, off, s[0:3], 0 offset:24
	s_waitcnt vmcnt(17)
	buffer_store_dword v12, off, s[0:3], 0 offset:32
	s_waitcnt vmcnt(17)
	buffer_store_dword v13, off, s[0:3], 0 offset:36
	buffer_load_dword v4, v5, s[0:3], 0 offen
	s_add_i32 s6, s6, -1
	s_cmp_lg_u32 s6, 0
	s_waitcnt vmcnt(0)
	ds_swizzle_b32 v4, v4 offset:swizzle(SWAP,8)
	s_waitcnt lgkmcnt(0)
	buffer_store_dword v4, v5, s[0:3], 0 offen
	buffer_load_dword v4, v18, s[0:3], 0 offen
	s_nop 0
	buffer_store_dword v14, off, s[0:3], 0 offset:40
	buffer_store_dword v15, off, s[0:3], 0 offset:44
	s_waitcnt vmcnt(2)
	ds_swizzle_b32 v4, v4 offset:swizzle(SWAP,8)
	s_waitcnt lgkmcnt(0)
	buffer_store_dword v4, v18, s[0:3], 0 offen
	buffer_load_dword v4, v19, s[0:3], 0 offen
	s_waitcnt vmcnt(0)
	ds_swizzle_b32 v4, v4 offset:swizzle(SWAP,8)
	s_waitcnt lgkmcnt(0)
	buffer_store_dword v4, v19, s[0:3], 0 offen
	buffer_load_dword v4, v20, s[0:3], 0 offen
	s_nop 0
	buffer_store_dword v0, off, s[0:3], 0 offset:48
	buffer_store_dword v1, off, s[0:3], 0 offset:52
	s_waitcnt vmcnt(2)
	ds_swizzle_b32 v0, v4 offset:swizzle(SWAP,8)
	s_waitcnt lgkmcnt(0)
	buffer_store_dword v0, v20, s[0:3], 0 offen
	buffer_load_dword v0, v21, s[0:3], 0 offen
	s_waitcnt vmcnt(0)
	ds_swizzle_b32 v0, v0 offset:swizzle(SWAP,8)
	s_waitcnt lgkmcnt(0)
	buffer_store_dword v0, v21, s[0:3], 0 offen
	buffer_load_dword v0, v22, s[0:3], 0 offen
	s_nop 0
	buffer_load_dword v1, v25, s[0:3], 0 offen
	s_nop 0
	buffer_store_dword v2, off, s[0:3], 0 offset:56
	buffer_store_dword v3, off, s[0:3], 0 offset:60
	s_waitcnt vmcnt(3)
	ds_swizzle_b32 v0, v0 offset:swizzle(SWAP,8)
	s_waitcnt vmcnt(2)
	ds_swizzle_b32 v1, v1 offset:swizzle(SWAP,4)
	s_waitcnt lgkmcnt(1)
	buffer_store_dword v0, v22, s[0:3], 0 offen
	s_waitcnt lgkmcnt(0)
	buffer_store_dword v1, v25, s[0:3], 0 offen
	buffer_load_dword v0, v23, s[0:3], 0 offen
	s_nop 0
	buffer_load_dword v1, v26, s[0:3], 0 offen
	s_waitcnt vmcnt(1)
	ds_swizzle_b32 v0, v0 offset:swizzle(SWAP,8)
	s_waitcnt vmcnt(0)
	ds_swizzle_b32 v1, v1 offset:swizzle(SWAP,4)
	s_waitcnt lgkmcnt(1)
	buffer_store_dword v0, v23, s[0:3], 0 offen
	s_waitcnt lgkmcnt(0)
	buffer_store_dword v1, v26, s[0:3], 0 offen
	buffer_load_dword v0, v24, s[0:3], 0 offen
	s_nop 0
	buffer_load_dword v1, v27, s[0:3], 0 offen
	;; [unrolled: 11-line block ×3, first 2 shown]
	buffer_load_dword v2, v33, s[0:3], 0 offen
	s_waitcnt vmcnt(2)
	ds_swizzle_b32 v0, v0 offset:swizzle(SWAP,4)
	s_waitcnt vmcnt(1)
	ds_swizzle_b32 v1, v1 offset:swizzle(SWAP,4)
	;; [unrolled: 2-line block ×3, first 2 shown]
	s_waitcnt lgkmcnt(2)
	buffer_store_dword v0, v29, s[0:3], 0 offen
	buffer_load_dword v0, v30, s[0:3], 0 offen
	s_waitcnt lgkmcnt(1)
	buffer_store_dword v1, v28, s[0:3], 0 offen
	s_waitcnt lgkmcnt(0)
	buffer_store_dword v2, v33, s[0:3], 0 offen
	buffer_load_dword v1, v34, s[0:3], 0 offen
	s_waitcnt vmcnt(3)
	ds_swizzle_b32 v0, v0 offset:swizzle(SWAP,4)
	s_waitcnt vmcnt(0)
	ds_swizzle_b32 v1, v1 offset:swizzle(SWAP,2)
	s_waitcnt lgkmcnt(1)
	buffer_store_dword v0, v30, s[0:3], 0 offen
	buffer_load_dword v0, v31, s[0:3], 0 offen
	s_nop 0
	buffer_load_dword v2, v35, s[0:3], 0 offen
	s_waitcnt vmcnt(1)
	ds_swizzle_b32 v0, v0 offset:swizzle(SWAP,4)
	s_waitcnt vmcnt(0)
	ds_swizzle_b32 v2, v2 offset:swizzle(SWAP,2)
	s_waitcnt lgkmcnt(2)
	buffer_store_dword v1, v34, s[0:3], 0 offen
	buffer_load_dword v1, v41, s[0:3], 0 offen
	s_waitcnt lgkmcnt(1)
	buffer_store_dword v0, v31, s[0:3], 0 offen
	s_waitcnt lgkmcnt(0)
	buffer_store_dword v2, v35, s[0:3], 0 offen
	buffer_load_dword v0, v32, s[0:3], 0 offen
	s_nop 0
	buffer_load_dword v2, v37, s[0:3], 0 offen
	buffer_load_dword v3, v36, s[0:3], 0 offen
	;; [unrolled: 1-line block ×3, first 2 shown]
	s_waitcnt vmcnt(6)
	ds_swizzle_b32 v1, v1 offset:swizzle(SWAP,1)
	s_waitcnt vmcnt(3)
	ds_swizzle_b32 v0, v0 offset:swizzle(SWAP,4)
	;; [unrolled: 2-line block ×4, first 2 shown]
	s_waitcnt lgkmcnt(2)
	buffer_store_dword v0, v32, s[0:3], 0 offen
	s_waitcnt lgkmcnt(1)
	buffer_store_dword v2, v37, s[0:3], 0 offen
	buffer_load_dword v0, v39, s[0:3], 0 offen
	s_nop 0
	buffer_load_dword v2, v38, s[0:3], 0 offen
	s_waitcnt vmcnt(1)
	ds_swizzle_b32 v0, v0 offset:swizzle(SWAP,2)
	s_waitcnt lgkmcnt(1)
	buffer_store_dword v3, v36, s[0:3], 0 offen
	buffer_load_dword v3, v43, s[0:3], 0 offen
	s_waitcnt vmcnt(2)
	ds_swizzle_b32 v2, v2 offset:swizzle(SWAP,2)
	s_waitcnt lgkmcnt(1)
	buffer_store_dword v0, v39, s[0:3], 0 offen
	buffer_load_dword v0, v40, s[0:3], 0 offen
	s_waitcnt vmcnt(0)
	ds_swizzle_b32 v0, v0 offset:swizzle(SWAP,2)
	s_waitcnt lgkmcnt(1)
	buffer_store_dword v2, v38, s[0:3], 0 offen
	buffer_load_dword v2, v44, s[0:3], 0 offen
	s_nop 0
	buffer_load_dword v10, v45, s[0:3], 0 offen
	buffer_load_dword v11, v46, s[0:3], 0 offen
	s_waitcnt lgkmcnt(0)
	buffer_store_dword v0, v40, s[0:3], 0 offen
	buffer_load_dword v0, v47, s[0:3], 0 offen
	s_nop 0
	buffer_load_dword v49, v48, s[0:3], 0 offen
	s_waitcnt vmcnt(1)
	ds_swizzle_b32 v0, v0 offset:swizzle(SWAP,1)
	buffer_store_dword v1, v41, s[0:3], 0 offen
	ds_swizzle_b32 v1, v6 offset:swizzle(SWAP,1)
	buffer_load_dword v4, off, s[0:3], 0
	buffer_load_dword v17, off, s[0:3], 0 offset:4
	s_waitcnt lgkmcnt(0)
	buffer_store_dword v1, v42, s[0:3], 0 offen
	ds_swizzle_b32 v1, v3 offset:swizzle(SWAP,1)
	buffer_load_dword v6, off, s[0:3], 0 offset:8
	buffer_load_dword v7, off, s[0:3], 0 offset:12
	ds_swizzle_b32 v3, v11 offset:swizzle(SWAP,1)
	s_waitcnt lgkmcnt(1)
	buffer_store_dword v1, v43, s[0:3], 0 offen
	ds_swizzle_b32 v1, v2 offset:swizzle(SWAP,1)
	ds_swizzle_b32 v2, v10 offset:swizzle(SWAP,1)
	buffer_load_dword v8, off, s[0:3], 0 offset:16
	buffer_load_dword v9, off, s[0:3], 0 offset:20
	s_waitcnt lgkmcnt(1)
	buffer_store_dword v1, v44, s[0:3], 0 offen
	s_waitcnt lgkmcnt(0)
	buffer_store_dword v2, v45, s[0:3], 0 offen
	buffer_store_dword v3, v46, s[0:3], 0 offen
	s_waitcnt vmcnt(12)
	ds_swizzle_b32 v1, v49 offset:swizzle(SWAP,1)
	buffer_load_dword v10, off, s[0:3], 0 offset:24
	buffer_load_dword v11, off, s[0:3], 0 offset:28
	;; [unrolled: 1-line block ×6, first 2 shown]
	s_nop 0
	buffer_store_dword v0, v47, s[0:3], 0 offen
	s_waitcnt lgkmcnt(0)
	buffer_store_dword v1, v48, s[0:3], 0 offen
	buffer_load_dword v0, off, s[0:3], 0 offset:48
	s_nop 0
	buffer_load_dword v1, off, s[0:3], 0 offset:52
	buffer_load_dword v2, off, s[0:3], 0 offset:56
	;; [unrolled: 1-line block ×3, first 2 shown]
	; wave barrier
	s_cbranch_scc1 .LBB25_2
; %bb.3:
	s_waitcnt vmcnt(21)
	v_mov_b32_e32 v5, v17
	s_branch .LBB25_5
.LBB25_4:
	v_pk_mov_b32 v[4:5], v[16:17], v[16:17] op_sel:[0,1]
.LBB25_5:
	s_load_dwordx2 s[4:5], s[4:5], 0x0
	v_lshl_or_b32 v16, s8, 12, v16
	v_mov_b32_e32 v17, 0
	v_lshlrev_b64 v[16:17], 2, v[16:17]
	s_waitcnt lgkmcnt(0)
	v_mov_b32_e32 v18, s5
	v_add_co_u32_e32 v16, vcc, s4, v16
	v_addc_co_u32_e32 v17, vcc, v18, v17, vcc
	s_waitcnt vmcnt(18)
	global_store_dwordx4 v[16:17], v[4:7], off
	s_waitcnt vmcnt(11)
	global_store_dwordx4 v[16:17], v[8:11], off offset:16
	s_waitcnt vmcnt(8)
	global_store_dwordx4 v[16:17], v[12:15], off offset:32
	;; [unrolled: 2-line block ×3, first 2 shown]
	s_endpgm
	.section	.rodata,"a",@progbits
	.p2align	6, 0x0
	.amdhsa_kernel _Z20warp_exchange_kernelILj256ELj16ELj16EN6common25StripedToBlockedShuffleOpEiEvPT3_j
		.amdhsa_group_segment_fixed_size 0
		.amdhsa_private_segment_fixed_size 80
		.amdhsa_kernarg_size 12
		.amdhsa_user_sgpr_count 8
		.amdhsa_user_sgpr_private_segment_buffer 1
		.amdhsa_user_sgpr_dispatch_ptr 0
		.amdhsa_user_sgpr_queue_ptr 0
		.amdhsa_user_sgpr_kernarg_segment_ptr 1
		.amdhsa_user_sgpr_dispatch_id 0
		.amdhsa_user_sgpr_flat_scratch_init 1
		.amdhsa_user_sgpr_kernarg_preload_length 0
		.amdhsa_user_sgpr_kernarg_preload_offset 0
		.amdhsa_user_sgpr_private_segment_size 0
		.amdhsa_uses_dynamic_stack 0
		.amdhsa_system_sgpr_private_segment_wavefront_offset 1
		.amdhsa_system_sgpr_workgroup_id_x 1
		.amdhsa_system_sgpr_workgroup_id_y 0
		.amdhsa_system_sgpr_workgroup_id_z 0
		.amdhsa_system_sgpr_workgroup_info 0
		.amdhsa_system_vgpr_workitem_id 0
		.amdhsa_next_free_vgpr 50
		.amdhsa_next_free_sgpr 10
		.amdhsa_accum_offset 52
		.amdhsa_reserve_vcc 1
		.amdhsa_reserve_flat_scratch 0
		.amdhsa_float_round_mode_32 0
		.amdhsa_float_round_mode_16_64 0
		.amdhsa_float_denorm_mode_32 3
		.amdhsa_float_denorm_mode_16_64 3
		.amdhsa_dx10_clamp 1
		.amdhsa_ieee_mode 1
		.amdhsa_fp16_overflow 0
		.amdhsa_tg_split 0
		.amdhsa_exception_fp_ieee_invalid_op 0
		.amdhsa_exception_fp_denorm_src 0
		.amdhsa_exception_fp_ieee_div_zero 0
		.amdhsa_exception_fp_ieee_overflow 0
		.amdhsa_exception_fp_ieee_underflow 0
		.amdhsa_exception_fp_ieee_inexact 0
		.amdhsa_exception_int_div_zero 0
	.end_amdhsa_kernel
	.section	.text._Z20warp_exchange_kernelILj256ELj16ELj16EN6common25StripedToBlockedShuffleOpEiEvPT3_j,"axG",@progbits,_Z20warp_exchange_kernelILj256ELj16ELj16EN6common25StripedToBlockedShuffleOpEiEvPT3_j,comdat
.Lfunc_end25:
	.size	_Z20warp_exchange_kernelILj256ELj16ELj16EN6common25StripedToBlockedShuffleOpEiEvPT3_j, .Lfunc_end25-_Z20warp_exchange_kernelILj256ELj16ELj16EN6common25StripedToBlockedShuffleOpEiEvPT3_j
                                        ; -- End function
	.section	.AMDGPU.csdata,"",@progbits
; Kernel info:
; codeLenInByte = 1992
; NumSgprs: 14
; NumVgprs: 50
; NumAgprs: 0
; TotalNumVgprs: 50
; ScratchSize: 80
; MemoryBound: 0
; FloatMode: 240
; IeeeMode: 1
; LDSByteSize: 0 bytes/workgroup (compile time only)
; SGPRBlocks: 1
; VGPRBlocks: 6
; NumSGPRsForWavesPerEU: 14
; NumVGPRsForWavesPerEU: 50
; AccumOffset: 52
; Occupancy: 8
; WaveLimiterHint : 0
; COMPUTE_PGM_RSRC2:SCRATCH_EN: 1
; COMPUTE_PGM_RSRC2:USER_SGPR: 8
; COMPUTE_PGM_RSRC2:TRAP_HANDLER: 0
; COMPUTE_PGM_RSRC2:TGID_X_EN: 1
; COMPUTE_PGM_RSRC2:TGID_Y_EN: 0
; COMPUTE_PGM_RSRC2:TGID_Z_EN: 0
; COMPUTE_PGM_RSRC2:TIDIG_COMP_CNT: 0
; COMPUTE_PGM_RSRC3_GFX90A:ACCUM_OFFSET: 12
; COMPUTE_PGM_RSRC3_GFX90A:TG_SPLIT: 0
	.section	.text._Z20warp_exchange_kernelILj256ELj16ELj32EN6common25StripedToBlockedShuffleOpEiEvPT3_j,"axG",@progbits,_Z20warp_exchange_kernelILj256ELj16ELj32EN6common25StripedToBlockedShuffleOpEiEvPT3_j,comdat
	.protected	_Z20warp_exchange_kernelILj256ELj16ELj32EN6common25StripedToBlockedShuffleOpEiEvPT3_j ; -- Begin function _Z20warp_exchange_kernelILj256ELj16ELj32EN6common25StripedToBlockedShuffleOpEiEvPT3_j
	.globl	_Z20warp_exchange_kernelILj256ELj16ELj32EN6common25StripedToBlockedShuffleOpEiEvPT3_j
	.p2align	8
	.type	_Z20warp_exchange_kernelILj256ELj16ELj32EN6common25StripedToBlockedShuffleOpEiEvPT3_j,@function
_Z20warp_exchange_kernelILj256ELj16ELj32EN6common25StripedToBlockedShuffleOpEiEvPT3_j: ; @_Z20warp_exchange_kernelILj256ELj16ELj32EN6common25StripedToBlockedShuffleOpEiEvPT3_j
; %bb.0:
	s_load_dword s7, s[4:5], 0x8
	v_lshlrev_b32_e32 v16, 4, v0
	v_or_b32_e32 v17, 1, v16
	v_or_b32_e32 v18, 2, v16
	;; [unrolled: 1-line block ×14, first 2 shown]
	s_waitcnt lgkmcnt(0)
	s_cmp_lg_u32 s7, 0
	v_or_b32_e32 v25, 15, v16
	s_cbranch_scc0 .LBB26_6
; %bb.1:
	v_mbcnt_lo_u32_b32 v0, -1, 0
	v_mbcnt_hi_u32_b32 v0, -1, v0
	v_and_b32_e32 v1, 0x60, v0
	v_add_u32_e32 v2, 28, v0
	v_and_or_b32 v2, v2, 31, v1
	v_lshlrev_b32_e32 v32, 2, v2
	v_add_u32_e32 v2, 24, v0
	v_and_or_b32 v2, v2, 31, v1
	v_lshlrev_b32_e32 v33, 2, v2
	;; [unrolled: 3-line block ×3, first 2 shown]
	v_lshlrev_b32_e32 v2, 2, v0
	v_xor_b32_e32 v35, 64, v2
	v_add_u32_e32 v2, 12, v0
	v_and_or_b32 v2, v2, 31, v1
	v_lshlrev_b32_e32 v36, 2, v2
	v_add_u32_e32 v2, 8, v0
	v_and_or_b32 v2, v2, 31, v1
	v_lshlrev_b32_e32 v37, 2, v2
	;; [unrolled: 3-line block ×3, first 2 shown]
	v_bfe_u32 v1, v0, 2, 3
	v_add_u32_e32 v3, 7, v1
	v_and_b32_e32 v39, 7, v3
	v_or_b32_e32 v40, 8, v3
	v_add_u32_e32 v3, 6, v1
	v_and_b32_e32 v41, 7, v3
	v_or_b32_e32 v42, 8, v3
	v_add_u32_e32 v3, 5, v1
	v_xor_b32_e32 v45, 4, v1
	v_and_b32_e32 v53, 3, v0
	v_and_b32_e32 v43, 7, v3
	v_or_b32_e32 v44, 8, v3
	v_add_u32_e32 v3, 7, v45
	v_add_u32_e32 v0, -1, v0
	v_xor_b32_e32 v56, 2, v53
	v_and_b32_e32 v47, 7, v3
	v_or_b32_e32 v48, 8, v3
	v_add_u32_e32 v3, 6, v45
	v_and_b32_e32 v55, 3, v0
	v_add_u32_e32 v0, 3, v56
	v_or_b32_e32 v2, 8, v1
	v_and_b32_e32 v49, 7, v3
	v_or_b32_e32 v50, 8, v3
	v_add_u32_e32 v3, 5, v45
	v_and_b32_e32 v57, 3, v0
	v_or_b32_e32 v46, 8, v45
	v_and_b32_e32 v51, 7, v3
	v_or_b32_e32 v52, 8, v3
	v_or_b32_e32 v54, 4, v53
	;; [unrolled: 1-line block ×4, first 2 shown]
	v_cmp_eq_u32_e32 vcc, 1, v1
	v_cmp_eq_u32_e64 s[0:1], 2, v1
	v_cmp_eq_u32_e64 s[2:3], 3, v1
	;; [unrolled: 1-line block ×36, first 2 shown]
	v_mov_b32_e32 v3, v25
	v_mov_b32_e32 v2, v24
	;; [unrolled: 1-line block ×16, first 2 shown]
	v_or_b32_e32 v60, 8, v53
	v_or_b32_e32 v61, 12, v53
	v_or_b32_e32 v62, 4, v55
	v_or_b32_e32 v63, 8, v55
	v_or_b32_e32 v64, 12, v55
	v_or_b32_e32 v65, 4, v56
	v_or_b32_e32 v66, 8, v56
	v_or_b32_e32 v67, 12, v56
	v_or_b32_e32 v68, 8, v57
                                        ; implicit-def: $vgpr80
                                        ; implicit-def: $vgpr79
                                        ; implicit-def: $vgpr78
                                        ; implicit-def: $vgpr77
                                        ; implicit-def: $vgpr76
                                        ; implicit-def: $vgpr75
                                        ; implicit-def: $vgpr74
                                        ; implicit-def: $vgpr73
                                        ; implicit-def: $vgpr72
                                        ; implicit-def: $vgpr71
                                        ; implicit-def: $vgpr70
                                        ; implicit-def: $vgpr69
.LBB26_2:                               ; =>This Inner Loop Header: Depth=1
	ds_bpermute_b32 v81, v32, v14
	v_cndmask_b32_e64 v87, v10, v12, s[10:11]
	v_cndmask_b32_e64 v88, v11, v12, s[12:13]
	v_cndmask_b32_e64 v87, v87, v13, s[50:51]
	v_cmp_eq_u32_e64 s[78:79], 6, v39
	v_cndmask_b32_e64 v89, v5, v12, s[14:15]
	v_cndmask_b32_e64 v88, v88, v13, s[48:49]
	s_waitcnt lgkmcnt(0)
	v_cndmask_b32_e64 v87, v87, v81, s[78:79]
	v_cmp_eq_u32_e64 s[78:79], 7, v39
	v_cndmask_b32_e64 v90, v6, v12, s[16:17]
	v_cndmask_b32_e64 v89, v89, v13, s[46:47]
	v_cndmask_b32_e64 v88, v88, v81, s[78:79]
	v_cmp_eq_u32_e64 s[78:79], 9, v39
	v_cndmask_b32_e64 v91, v7, v12, s[18:19]
	v_cndmask_b32_e64 v90, v90, v13, s[44:45]
	;; [unrolled: 4-line block ×4, first 2 shown]
	v_cndmask_b32_e64 v91, v91, v81, s[78:79]
	v_cmp_eq_u32_e64 s[78:79], 12, v39
	ds_bpermute_b32 v82, v32, v15
	v_cndmask_b32_e64 v94, v2, v12, s[24:25]
	v_cndmask_b32_e64 v93, v93, v13, s[38:39]
	;; [unrolled: 1-line block ×3, first 2 shown]
	v_cmp_eq_u32_e64 s[78:79], 13, v39
	v_cndmask_b32_e64 v95, v3, v12, s[26:27]
	v_cndmask_b32_e64 v94, v94, v13, s[36:37]
	v_cndmask_b32_e64 v93, v93, v81, s[78:79]
	v_cmp_eq_u32_e64 s[78:79], 14, v39
	ds_bpermute_b32 v84, v33, v9
	v_cndmask_b32_e32 v85, v13, v12, vcc
	v_cndmask_b32_e64 v14, v14, v12, s[0:1]
	v_cndmask_b32_e64 v15, v15, v12, s[2:3]
	;; [unrolled: 1-line block ×7, first 2 shown]
	v_cmp_eq_u32_e64 s[78:79], 15, v39
	v_cndmask_b32_e64 v96, v96, v13, s[30:31]
	v_cndmask_b32_e64 v9, v9, v13, s[52:53]
	;; [unrolled: 1-line block ×8, first 2 shown]
	v_cmp_eq_u32_e64 s[78:79], 8, v39
	v_cndmask_b32_e64 v13, v13, v81, s[64:65]
	v_cndmask_b32_e64 v85, v85, v81, s[66:67]
	;; [unrolled: 1-line block ×7, first 2 shown]
	v_cmp_eq_u32_e64 s[78:79], 0, v40
	s_waitcnt lgkmcnt(1)
	v_cndmask_b32_e64 v13, v13, v82, s[78:79]
	v_cmp_eq_u32_e64 s[78:79], 8, v40
	v_cndmask_b32_e64 v81, v81, v82, s[78:79]
	v_cmp_eq_u32_e64 s[78:79], 15, v40
	;; [unrolled: 2-line block ×11, first 2 shown]
	ds_bpermute_b32 v83, v33, v8
	v_cndmask_b32_e64 v9, v9, v82, s[78:79]
	v_cmp_eq_u32_e64 s[78:79], 4, v40
	v_cndmask_b32_e64 v86, v86, v82, s[78:79]
	v_cmp_eq_u32_e64 s[78:79], 3, v40
	;; [unrolled: 2-line block ×5, first 2 shown]
	s_waitcnt lgkmcnt(0)
	v_cndmask_b32_e64 v13, v13, v83, s[78:79]
	v_cmp_eq_u32_e64 s[78:79], 1, v41
	v_cndmask_b32_e64 v82, v82, v83, s[78:79]
	v_cmp_eq_u32_e64 s[78:79], 2, v41
	;; [unrolled: 2-line block ×27, first 2 shown]
	ds_bpermute_b32 v10, v34, v10
	v_cndmask_b32_e64 v9, v9, v84, s[78:79]
	v_cmp_eq_u32_e64 s[78:79], 4, v42
	v_cndmask_b32_e64 v85, v85, v84, s[78:79]
	v_cmp_eq_u32_e64 s[78:79], 3, v42
	v_cndmask_b32_e64 v15, v15, v84, s[78:79]
	v_cmp_eq_u32_e64 s[78:79], 2, v42
	v_cndmask_b32_e64 v14, v14, v84, s[78:79]
	v_cmp_eq_u32_e64 s[78:79], 1, v42
	v_cndmask_b32_e64 v82, v82, v84, s[78:79]
	v_cmp_eq_u32_e64 s[78:79], 0, v43
	s_waitcnt lgkmcnt(0)
	v_cndmask_b32_e64 v13, v13, v10, s[78:79]
	v_cmp_eq_u32_e64 s[78:79], 1, v43
	v_cndmask_b32_e64 v82, v82, v10, s[78:79]
	v_cmp_eq_u32_e64 s[78:79], 2, v43
	v_cndmask_b32_e64 v14, v14, v10, s[78:79]
	v_cmp_eq_u32_e64 s[78:79], 3, v43
	v_cndmask_b32_e64 v15, v15, v10, s[78:79]
	v_cmp_eq_u32_e64 s[78:79], 4, v43
	v_cndmask_b32_e64 v84, v85, v10, s[78:79]
	v_cmp_eq_u32_e64 s[78:79], 5, v43
	v_cndmask_b32_e64 v9, v9, v10, s[78:79]
	v_cmp_eq_u32_e64 s[78:79], 6, v43
	v_cndmask_b32_e64 v85, v86, v10, s[78:79]
	v_cmp_eq_u32_e64 s[78:79], 7, v43
	v_cndmask_b32_e64 v86, v87, v10, s[78:79]
	v_cmp_eq_u32_e64 s[78:79], 9, v43
	v_cndmask_b32_e64 v87, v88, v10, s[78:79]
	v_cmp_eq_u32_e64 s[78:79], 10, v43
	v_cndmask_b32_e64 v88, v89, v10, s[78:79]
	v_cmp_eq_u32_e64 s[78:79], 11, v43
	v_cndmask_b32_e64 v89, v90, v10, s[78:79]
	v_cmp_eq_u32_e64 s[78:79], 12, v43
	ds_bpermute_b32 v11, v34, v11
	v_cndmask_b32_e64 v90, v91, v10, s[78:79]
	v_cmp_eq_u32_e64 s[78:79], 13, v43
	v_cndmask_b32_e64 v91, v92, v10, s[78:79]
	v_cmp_eq_u32_e64 s[78:79], 14, v43
	v_cndmask_b32_e64 v92, v93, v10, s[78:79]
	v_cmp_eq_u32_e64 s[78:79], 15, v43
	v_cndmask_b32_e64 v93, v94, v10, s[78:79]
	v_cmp_eq_u32_e64 s[78:79], 8, v43
	v_cndmask_b32_e64 v10, v81, v10, s[78:79]
	v_cmp_eq_u32_e64 s[78:79], 0, v44
	s_waitcnt lgkmcnt(0)
	v_cndmask_b32_e64 v13, v13, v11, s[78:79]
	v_cmp_eq_u32_e64 s[78:79], 8, v44
	v_cndmask_b32_e64 v10, v10, v11, s[78:79]
	v_cmp_eq_u32_e64 s[78:79], 15, v44
	v_cndmask_b32_e64 v81, v93, v11, s[78:79]
	v_cmp_eq_u32_e64 s[78:79], 14, v44
	v_cndmask_b32_e64 v92, v92, v11, s[78:79]
	v_cmp_eq_u32_e64 s[78:79], 13, v44
	v_cndmask_b32_e64 v91, v91, v11, s[78:79]
	v_cmp_eq_u32_e64 s[78:79], 12, v44
	v_cndmask_b32_e64 v90, v90, v11, s[78:79]
	v_cmp_eq_u32_e64 s[78:79], 11, v44
	v_cndmask_b32_e64 v89, v89, v11, s[78:79]
	v_cmp_eq_u32_e64 s[78:79], 10, v44
	v_cndmask_b32_e64 v88, v88, v11, s[78:79]
	v_cmp_eq_u32_e64 s[78:79], 9, v44
	v_cndmask_b32_e64 v87, v87, v11, s[78:79]
	v_cmp_eq_u32_e64 s[78:79], 7, v44
	v_cndmask_b32_e64 v86, v86, v11, s[78:79]
	v_cmp_eq_u32_e64 s[78:79], 6, v44
	v_cndmask_b32_e64 v85, v85, v11, s[78:79]
	v_cmp_eq_u32_e64 s[78:79], 5, v44
	;; [unrolled: 34-line block ×10, first 2 shown]
	v_cndmask_b32_e64 v9, v9, v3, s[78:79]
	v_cmp_eq_u32_e64 s[78:79], 4, v52
	v_cndmask_b32_e64 v13, v13, v3, s[78:79]
	v_cmp_eq_u32_e64 s[78:79], 3, v52
	;; [unrolled: 2-line block ×4, first 2 shown]
	v_cndmask_b32_e64 v1, v1, v3, s[78:79]
	ds_bpermute_b32 v3, v38, v1
	ds_bpermute_b32 v1, v35, v13
	;; [unrolled: 1-line block ×3, first 2 shown]
	v_cmp_eq_u32_e64 s[78:79], 0, v53
	ds_bpermute_b32 v13, v33, v14
	ds_bpermute_b32 v14, v32, v15
	;; [unrolled: 1-line block ×5, first 2 shown]
	s_waitcnt lgkmcnt(6)
	v_mov_b32_dpp v85, v1 quad_perm:[3,0,1,2] row_mask:0xf bank_mask:0xf
	s_waitcnt lgkmcnt(5)
	v_mov_b32_dpp v1, v6 quad_perm:[1,2,3,0] row_mask:0xf bank_mask:0xf
	v_cndmask_b32_e64 v6, v12, v5, s[78:79]
	v_cmp_eq_u32_e64 s[78:79], 1, v53
	v_cndmask_b32_e64 v12, v80, v5, s[78:79]
	v_cmp_eq_u32_e64 s[78:79], 2, v53
	v_cndmask_b32_e64 v79, v79, v5, s[78:79]
	v_cmp_eq_u32_e64 s[78:79], 3, v53
	v_cndmask_b32_e64 v78, v78, v5, s[78:79]
	v_cmp_eq_u32_e64 s[78:79], 4, v53
	v_cndmask_b32_e64 v8, v8, v5, s[78:79]
	v_cmp_eq_u32_e64 s[78:79], 5, v53
	v_cndmask_b32_e64 v77, v77, v5, s[78:79]
	v_cmp_eq_u32_e64 s[78:79], 6, v53
	v_cndmask_b32_e64 v76, v76, v5, s[78:79]
	v_cmp_eq_u32_e64 s[78:79], 7, v53
	v_cndmask_b32_e64 v75, v75, v5, s[78:79]
	v_cmp_eq_u32_e64 s[78:79], 8, v53
	v_cndmask_b32_e64 v4, v4, v5, s[78:79]
	v_cmp_eq_u32_e64 s[78:79], 9, v53
	v_cndmask_b32_e64 v74, v74, v5, s[78:79]
	v_cmp_eq_u32_e64 s[78:79], 10, v53
	v_cndmask_b32_e64 v73, v73, v5, s[78:79]
	v_cmp_eq_u32_e64 s[78:79], 11, v53
	v_cndmask_b32_e64 v72, v72, v5, s[78:79]
	v_cmp_eq_u32_e64 s[78:79], 12, v53
	v_cndmask_b32_e64 v0, v0, v5, s[78:79]
	v_cmp_eq_u32_e64 s[78:79], 13, v53
	v_cndmask_b32_e64 v71, v71, v5, s[78:79]
	v_cmp_eq_u32_e64 s[78:79], 14, v53
	v_cndmask_b32_e64 v70, v70, v5, s[78:79]
	v_cmp_eq_u32_e64 s[78:79], 15, v53
	v_cndmask_b32_e64 v5, v69, v5, s[78:79]
	v_cmp_eq_u32_e64 s[78:79], 15, v54
	v_cndmask_b32_e64 v5, v5, v3, s[78:79]
	v_cmp_eq_u32_e64 s[78:79], 14, v54
	v_cndmask_b32_e64 v69, v70, v3, s[78:79]
	v_cmp_eq_u32_e64 s[78:79], 13, v54
	v_cndmask_b32_e64 v70, v71, v3, s[78:79]
	v_cmp_eq_u32_e64 s[78:79], 12, v54
	v_cndmask_b32_e64 v0, v0, v3, s[78:79]
	v_cmp_eq_u32_e64 s[78:79], 11, v54
	v_cndmask_b32_e64 v71, v72, v3, s[78:79]
	v_cmp_eq_u32_e64 s[78:79], 10, v54
	v_cndmask_b32_e64 v72, v73, v3, s[78:79]
	v_cmp_eq_u32_e64 s[78:79], 9, v54
	v_cndmask_b32_e64 v73, v74, v3, s[78:79]
	v_cmp_eq_u32_e64 s[78:79], 8, v54
	v_cndmask_b32_e64 v4, v4, v3, s[78:79]
	v_cmp_eq_u32_e64 s[78:79], 7, v54
	v_cndmask_b32_e64 v74, v75, v3, s[78:79]
	v_cmp_eq_u32_e64 s[78:79], 6, v54
	v_cndmask_b32_e64 v75, v76, v3, s[78:79]
	v_cmp_eq_u32_e64 s[78:79], 5, v54
	v_cndmask_b32_e64 v76, v77, v3, s[78:79]
	v_cmp_eq_u32_e64 s[78:79], 4, v54
	ds_bpermute_b32 v7, v37, v7
	v_cndmask_b32_e64 v8, v8, v3, s[78:79]
	v_cmp_eq_u32_e64 s[78:79], 3, v54
	v_cndmask_b32_e64 v77, v78, v3, s[78:79]
	v_cmp_eq_u32_e64 s[78:79], 2, v54
	;; [unrolled: 2-line block ×5, first 2 shown]
	s_waitcnt lgkmcnt(0)
	v_cndmask_b32_e64 v3, v3, v7, s[78:79]
	v_cmp_eq_u32_e64 s[78:79], 1, v60
	v_cndmask_b32_e64 v6, v12, v7, s[78:79]
	v_cmp_eq_u32_e64 s[78:79], 2, v60
	;; [unrolled: 2-line block ×11, first 2 shown]
	ds_bpermute_b32 v10, v36, v10
	v_cndmask_b32_e64 v71, v71, v7, s[78:79]
	v_cmp_eq_u32_e64 s[78:79], 12, v60
	v_cndmask_b32_e64 v0, v0, v7, s[78:79]
	v_cmp_eq_u32_e64 s[78:79], 13, v60
	;; [unrolled: 2-line block ×5, first 2 shown]
	s_waitcnt lgkmcnt(0)
	v_cndmask_b32_e64 v5, v5, v10, s[78:79]
	v_cmp_eq_u32_e64 s[78:79], 14, v61
	v_cndmask_b32_e64 v7, v69, v10, s[78:79]
	v_cmp_eq_u32_e64 s[78:79], 13, v61
	;; [unrolled: 2-line block ×26, first 2 shown]
	ds_bpermute_b32 v9, v34, v9
	v_cndmask_b32_e64 v71, v71, v85, s[78:79]
	v_cmp_eq_u32_e64 s[78:79], 11, v55
	v_cndmask_b32_e64 v70, v70, v85, s[78:79]
	v_cmp_eq_u32_e64 s[78:79], 12, v55
	v_cndmask_b32_e64 v0, v0, v85, s[78:79]
	v_cmp_eq_u32_e64 s[78:79], 13, v55
	v_cndmask_b32_e64 v69, v69, v85, s[78:79]
	v_cmp_eq_u32_e64 s[78:79], 14, v55
	v_cndmask_b32_e64 v7, v7, v85, s[78:79]
	v_cmp_eq_u32_e64 s[78:79], 15, v55
	s_waitcnt lgkmcnt(0)
	v_mov_b32_dpp v9, v9 quad_perm:[3,0,1,2] row_mask:0xf bank_mask:0xf
	v_cndmask_b32_e64 v5, v5, v85, s[78:79]
	v_cmp_eq_u32_e64 s[78:79], 15, v62
	v_cndmask_b32_e64 v5, v5, v9, s[78:79]
	v_cmp_eq_u32_e64 s[78:79], 14, v62
	v_cndmask_b32_e64 v7, v7, v9, s[78:79]
	v_cmp_eq_u32_e64 s[78:79], 13, v62
	v_cndmask_b32_e64 v69, v69, v9, s[78:79]
	v_cmp_eq_u32_e64 s[78:79], 12, v62
	v_cndmask_b32_e64 v0, v0, v9, s[78:79]
	v_cmp_eq_u32_e64 s[78:79], 11, v62
	v_cndmask_b32_e64 v70, v70, v9, s[78:79]
	v_cmp_eq_u32_e64 s[78:79], 10, v62
	v_cndmask_b32_e64 v71, v71, v9, s[78:79]
	v_cmp_eq_u32_e64 s[78:79], 9, v62
	v_cndmask_b32_e64 v72, v72, v9, s[78:79]
	v_cmp_eq_u32_e64 s[78:79], 8, v62
	v_cndmask_b32_e64 v4, v4, v9, s[78:79]
	v_cmp_eq_u32_e64 s[78:79], 7, v62
	v_cndmask_b32_e64 v73, v73, v9, s[78:79]
	v_cmp_eq_u32_e64 s[78:79], 6, v62
	v_cndmask_b32_e64 v74, v74, v9, s[78:79]
	v_cmp_eq_u32_e64 s[78:79], 5, v62
	v_cndmask_b32_e64 v75, v75, v9, s[78:79]
	v_cmp_eq_u32_e64 s[78:79], 4, v62
	v_cndmask_b32_e64 v8, v8, v9, s[78:79]
	v_cmp_eq_u32_e64 s[78:79], 3, v62
	v_cndmask_b32_e64 v12, v12, v9, s[78:79]
	v_cmp_eq_u32_e64 s[78:79], 2, v62
	v_cndmask_b32_e64 v10, v10, v9, s[78:79]
	v_cmp_eq_u32_e64 s[78:79], 1, v62
	v_cndmask_b32_e64 v6, v6, v9, s[78:79]
	v_cmp_eq_u32_e64 s[78:79], 0, v62
	v_mov_b32_dpp v13, v13 quad_perm:[3,0,1,2] row_mask:0xf bank_mask:0xf
	v_cndmask_b32_e64 v3, v3, v9, s[78:79]
	v_cmp_eq_u32_e64 s[78:79], 0, v63
	v_cndmask_b32_e64 v3, v3, v13, s[78:79]
	v_cmp_eq_u32_e64 s[78:79], 1, v63
	v_cndmask_b32_e64 v6, v6, v13, s[78:79]
	v_cmp_eq_u32_e64 s[78:79], 2, v63
	v_cndmask_b32_e64 v9, v10, v13, s[78:79]
	v_cmp_eq_u32_e64 s[78:79], 3, v63
	v_cndmask_b32_e64 v10, v12, v13, s[78:79]
	v_cmp_eq_u32_e64 s[78:79], 4, v63
	v_cndmask_b32_e64 v8, v8, v13, s[78:79]
	v_cmp_eq_u32_e64 s[78:79], 5, v63
	v_cndmask_b32_e64 v12, v75, v13, s[78:79]
	v_cmp_eq_u32_e64 s[78:79], 6, v63
	v_cndmask_b32_e64 v74, v74, v13, s[78:79]
	v_cmp_eq_u32_e64 s[78:79], 7, v63
	v_cndmask_b32_e64 v73, v73, v13, s[78:79]
	v_cmp_eq_u32_e64 s[78:79], 8, v63
	v_cndmask_b32_e64 v4, v4, v13, s[78:79]
	v_cmp_eq_u32_e64 s[78:79], 9, v63
	v_cndmask_b32_e64 v72, v72, v13, s[78:79]
	v_cmp_eq_u32_e64 s[78:79], 10, v63
	v_cndmask_b32_e64 v71, v71, v13, s[78:79]
	v_cmp_eq_u32_e64 s[78:79], 11, v63
	v_cndmask_b32_e64 v70, v70, v13, s[78:79]
	v_cmp_eq_u32_e64 s[78:79], 12, v63
	v_cndmask_b32_e64 v0, v0, v13, s[78:79]
	v_cmp_eq_u32_e64 s[78:79], 13, v63
	v_cndmask_b32_e64 v69, v69, v13, s[78:79]
	v_cmp_eq_u32_e64 s[78:79], 14, v63
	v_cndmask_b32_e64 v7, v7, v13, s[78:79]
	v_cmp_eq_u32_e64 s[78:79], 15, v63
	;; [unrolled: 33-line block ×6, first 2 shown]
	v_mov_b32_dpp v84, v84 quad_perm:[2,3,0,1] row_mask:0xf bank_mask:0xf
	v_cndmask_b32_e64 v2, v2, v82, s[78:79]
	v_cmp_eq_u32_e64 s[78:79], 15, v67
	v_cndmask_b32_e64 v2, v2, v84, s[78:79]
	v_cmp_eq_u32_e64 s[78:79], 14, v67
	v_cndmask_b32_e64 v5, v5, v84, s[78:79]
	v_cmp_eq_u32_e64 s[78:79], 13, v67
	v_cndmask_b32_e64 v7, v7, v84, s[78:79]
	v_cmp_eq_u32_e64 s[78:79], 12, v67
	v_cndmask_b32_e64 v0, v0, v84, s[78:79]
	v_cmp_eq_u32_e64 s[78:79], 11, v67
	v_cndmask_b32_e64 v13, v13, v84, s[78:79]
	v_cmp_eq_u32_e64 s[78:79], 10, v67
	v_cndmask_b32_e64 v69, v69, v84, s[78:79]
	v_cmp_eq_u32_e64 s[78:79], 9, v67
	v_cndmask_b32_e64 v70, v70, v84, s[78:79]
	v_cmp_eq_u32_e64 s[78:79], 8, v67
	v_cndmask_b32_e64 v4, v4, v84, s[78:79]
	v_cmp_eq_u32_e64 s[78:79], 7, v67
	v_cndmask_b32_e64 v15, v15, v84, s[78:79]
	v_cmp_eq_u32_e64 s[78:79], 6, v67
	v_cndmask_b32_e64 v14, v14, v84, s[78:79]
	v_cmp_eq_u32_e64 s[78:79], 5, v67
	ds_bpermute_b32 v83, v35, v83
	v_cndmask_b32_e64 v12, v12, v84, s[78:79]
	v_cmp_eq_u32_e64 s[78:79], 4, v67
	v_cndmask_b32_e64 v8, v8, v84, s[78:79]
	v_cmp_eq_u32_e64 s[78:79], 3, v67
	v_cndmask_b32_e64 v10, v10, v84, s[78:79]
	v_cmp_eq_u32_e64 s[78:79], 2, v67
	v_cndmask_b32_e64 v9, v9, v84, s[78:79]
	v_cmp_eq_u32_e64 s[78:79], 1, v67
	v_cndmask_b32_e64 v6, v6, v84, s[78:79]
	v_cmp_eq_u32_e64 s[78:79], 0, v67
	s_waitcnt lgkmcnt(0)
	v_mov_b32_dpp v83, v83 quad_perm:[1,2,3,0] row_mask:0xf bank_mask:0xf
	v_cndmask_b32_e64 v3, v3, v84, s[78:79]
	v_cmp_eq_u32_e64 s[78:79], 0, v57
	v_cndmask_b32_e64 v3, v3, v83, s[78:79]
	v_cmp_eq_u32_e64 s[78:79], 1, v57
	v_cndmask_b32_e64 v6, v6, v83, s[78:79]
	v_cmp_eq_u32_e64 s[78:79], 2, v57
	v_cndmask_b32_e64 v9, v9, v83, s[78:79]
	v_cmp_eq_u32_e64 s[78:79], 3, v57
	v_cndmask_b32_e64 v10, v10, v83, s[78:79]
	v_cmp_eq_u32_e64 s[78:79], 4, v57
	v_cndmask_b32_e64 v8, v8, v83, s[78:79]
	v_cmp_eq_u32_e64 s[78:79], 5, v57
	v_cndmask_b32_e64 v12, v12, v83, s[78:79]
	v_cmp_eq_u32_e64 s[78:79], 6, v57
	v_cndmask_b32_e64 v14, v14, v83, s[78:79]
	v_cmp_eq_u32_e64 s[78:79], 7, v57
	v_cndmask_b32_e64 v15, v15, v83, s[78:79]
	v_cmp_eq_u32_e64 s[78:79], 8, v57
	v_cndmask_b32_e64 v4, v4, v83, s[78:79]
	v_cmp_eq_u32_e64 s[78:79], 9, v57
	v_cndmask_b32_e64 v70, v70, v83, s[78:79]
	v_cmp_eq_u32_e64 s[78:79], 10, v57
	ds_bpermute_b32 v81, v34, v81
	v_cndmask_b32_e64 v69, v69, v83, s[78:79]
	v_cmp_eq_u32_e64 s[78:79], 11, v57
	v_cndmask_b32_e64 v13, v13, v83, s[78:79]
	v_cmp_eq_u32_e64 s[78:79], 12, v57
	v_cndmask_b32_e64 v0, v0, v83, s[78:79]
	v_cmp_eq_u32_e64 s[78:79], 13, v57
	v_cndmask_b32_e64 v7, v7, v83, s[78:79]
	v_cmp_eq_u32_e64 s[78:79], 14, v57
	v_cndmask_b32_e64 v5, v5, v83, s[78:79]
	v_cmp_eq_u32_e64 s[78:79], 15, v57
	s_waitcnt lgkmcnt(0)
	;; [unrolled: 35-line block ×3, first 2 shown]
	v_mov_b32_dpp v11, v11 quad_perm:[1,2,3,0] row_mask:0xf bank_mask:0xf
	v_cndmask_b32_e64 v3, v3, v81, s[78:79]
	v_cmp_eq_u32_e64 s[78:79], 0, v68
	v_cndmask_b32_e64 v3, v3, v11, s[78:79]
	v_cmp_eq_u32_e64 s[78:79], 1, v68
	v_cndmask_b32_e64 v6, v6, v11, s[78:79]
	v_cmp_eq_u32_e64 s[78:79], 2, v68
	v_cndmask_b32_e64 v9, v9, v11, s[78:79]
	v_cmp_eq_u32_e64 s[78:79], 3, v68
	v_cndmask_b32_e64 v10, v10, v11, s[78:79]
	v_cmp_eq_u32_e64 s[78:79], 4, v68
	v_cndmask_b32_e64 v8, v8, v11, s[78:79]
	v_cmp_eq_u32_e64 s[78:79], 5, v68
	v_cndmask_b32_e64 v12, v12, v11, s[78:79]
	v_cmp_eq_u32_e64 s[78:79], 6, v68
	v_cndmask_b32_e64 v14, v14, v11, s[78:79]
	v_cmp_eq_u32_e64 s[78:79], 7, v68
	v_cndmask_b32_e64 v15, v15, v11, s[78:79]
	v_cmp_eq_u32_e64 s[78:79], 8, v68
	v_cndmask_b32_e64 v4, v4, v11, s[78:79]
	v_cmp_eq_u32_e64 s[78:79], 9, v68
	v_cndmask_b32_e64 v74, v70, v11, s[78:79]
	v_cmp_eq_u32_e64 s[78:79], 10, v68
	v_cndmask_b32_e64 v73, v69, v11, s[78:79]
	v_cmp_eq_u32_e64 s[78:79], 11, v68
	v_cndmask_b32_e64 v13, v13, v11, s[78:79]
	v_cmp_eq_u32_e64 s[78:79], 12, v68
	v_cndmask_b32_e64 v0, v0, v11, s[78:79]
	v_cmp_eq_u32_e64 s[78:79], 13, v68
	v_cndmask_b32_e64 v7, v7, v11, s[78:79]
	v_cmp_eq_u32_e64 s[78:79], 14, v68
	v_cndmask_b32_e64 v5, v5, v11, s[78:79]
	v_cmp_eq_u32_e64 s[78:79], 15, v68
	v_cndmask_b32_e64 v2, v2, v11, s[78:79]
	v_cmp_eq_u32_e64 s[78:79], 15, v59
	v_cndmask_b32_e64 v69, v2, v1, s[78:79]
	v_cmp_eq_u32_e64 s[78:79], 14, v59
	v_cndmask_b32_e64 v70, v5, v1, s[78:79]
	v_cmp_eq_u32_e64 s[78:79], 13, v59
	v_cndmask_b32_e64 v71, v7, v1, s[78:79]
	v_cmp_eq_u32_e64 s[78:79], 12, v59
	v_cndmask_b32_e64 v0, v0, v1, s[78:79]
	v_cmp_eq_u32_e64 s[78:79], 11, v59
	v_cndmask_b32_e64 v72, v13, v1, s[78:79]
	v_cmp_eq_u32_e64 s[78:79], 10, v59
	v_cndmask_b32_e64 v73, v73, v1, s[78:79]
	v_cmp_eq_u32_e64 s[78:79], 9, v59
	v_cndmask_b32_e64 v74, v74, v1, s[78:79]
	v_cmp_eq_u32_e64 s[78:79], 8, v59
	v_cndmask_b32_e64 v4, v4, v1, s[78:79]
	v_cmp_eq_u32_e64 s[78:79], 7, v59
	v_cndmask_b32_e64 v75, v15, v1, s[78:79]
	v_cmp_eq_u32_e64 s[78:79], 6, v59
	v_cndmask_b32_e64 v76, v14, v1, s[78:79]
	v_cmp_eq_u32_e64 s[78:79], 5, v59
	v_cndmask_b32_e64 v77, v12, v1, s[78:79]
	v_cmp_eq_u32_e64 s[78:79], 4, v59
	v_cndmask_b32_e64 v8, v8, v1, s[78:79]
	v_cmp_eq_u32_e64 s[78:79], 3, v59
	v_cndmask_b32_e64 v78, v10, v1, s[78:79]
	v_cmp_eq_u32_e64 s[78:79], 2, v59
	v_cndmask_b32_e64 v79, v9, v1, s[78:79]
	v_cmp_eq_u32_e64 s[78:79], 1, v59
	v_cndmask_b32_e64 v80, v6, v1, s[78:79]
	v_cmp_eq_u32_e64 s[78:79], 0, v59
	s_add_i32 s7, s7, -1
	v_cndmask_b32_e64 v12, v3, v1, s[78:79]
	v_mov_b32_dpp v13, v80 quad_perm:[1,2,3,0] row_mask:0xf bank_mask:0xf
	v_mov_b32_dpp v14, v79 quad_perm:[2,3,0,1] row_mask:0xf bank_mask:0xf
	;; [unrolled: 1-line block ×12, first 2 shown]
	s_cmp_lg_u32 s7, 0
	; wave barrier
	s_cbranch_scc1 .LBB26_2
; %bb.3:
	s_branch .LBB26_5
.LBB26_4:
	v_pk_mov_b32 v[14:15], v[18:19], v[18:19] op_sel:[0,1]
	v_pk_mov_b32 v[10:11], v[20:21], v[20:21] op_sel:[0,1]
	;; [unrolled: 1-line block ×5, first 2 shown]
	v_mov_b32_e32 v8, v26
	v_mov_b32_e32 v9, v27
	;; [unrolled: 1-line block ×6, first 2 shown]
.LBB26_5:
	s_load_dwordx2 s[0:1], s[4:5], 0x0
	v_lshl_or_b32 v16, s6, 12, v16
	v_mov_b32_e32 v17, 0
	v_lshlrev_b64 v[16:17], 2, v[16:17]
	s_waitcnt lgkmcnt(0)
	v_mov_b32_e32 v18, s1
	v_add_co_u32_e32 v16, vcc, s0, v16
	v_addc_co_u32_e32 v17, vcc, v18, v17, vcc
	global_store_dwordx4 v[16:17], v[12:15], off
	global_store_dwordx4 v[16:17], v[8:11], off offset:16
	global_store_dwordx4 v[16:17], v[4:7], off offset:32
	;; [unrolled: 1-line block ×3, first 2 shown]
	s_endpgm
.LBB26_6:
                                        ; implicit-def: $vgpr1
                                        ; implicit-def: $vgpr5
                                        ; implicit-def: $vgpr9
                                        ; implicit-def: $vgpr12_vgpr13
	s_cbranch_execnz .LBB26_4
	s_branch .LBB26_5
	.section	.rodata,"a",@progbits
	.p2align	6, 0x0
	.amdhsa_kernel _Z20warp_exchange_kernelILj256ELj16ELj32EN6common25StripedToBlockedShuffleOpEiEvPT3_j
		.amdhsa_group_segment_fixed_size 0
		.amdhsa_private_segment_fixed_size 0
		.amdhsa_kernarg_size 12
		.amdhsa_user_sgpr_count 6
		.amdhsa_user_sgpr_private_segment_buffer 1
		.amdhsa_user_sgpr_dispatch_ptr 0
		.amdhsa_user_sgpr_queue_ptr 0
		.amdhsa_user_sgpr_kernarg_segment_ptr 1
		.amdhsa_user_sgpr_dispatch_id 0
		.amdhsa_user_sgpr_flat_scratch_init 0
		.amdhsa_user_sgpr_kernarg_preload_length 0
		.amdhsa_user_sgpr_kernarg_preload_offset 0
		.amdhsa_user_sgpr_private_segment_size 0
		.amdhsa_uses_dynamic_stack 0
		.amdhsa_system_sgpr_private_segment_wavefront_offset 0
		.amdhsa_system_sgpr_workgroup_id_x 1
		.amdhsa_system_sgpr_workgroup_id_y 0
		.amdhsa_system_sgpr_workgroup_id_z 0
		.amdhsa_system_sgpr_workgroup_info 0
		.amdhsa_system_vgpr_workitem_id 0
		.amdhsa_next_free_vgpr 97
		.amdhsa_next_free_sgpr 80
		.amdhsa_accum_offset 100
		.amdhsa_reserve_vcc 1
		.amdhsa_reserve_flat_scratch 0
		.amdhsa_float_round_mode_32 0
		.amdhsa_float_round_mode_16_64 0
		.amdhsa_float_denorm_mode_32 3
		.amdhsa_float_denorm_mode_16_64 3
		.amdhsa_dx10_clamp 1
		.amdhsa_ieee_mode 1
		.amdhsa_fp16_overflow 0
		.amdhsa_tg_split 0
		.amdhsa_exception_fp_ieee_invalid_op 0
		.amdhsa_exception_fp_denorm_src 0
		.amdhsa_exception_fp_ieee_div_zero 0
		.amdhsa_exception_fp_ieee_overflow 0
		.amdhsa_exception_fp_ieee_underflow 0
		.amdhsa_exception_fp_ieee_inexact 0
		.amdhsa_exception_int_div_zero 0
	.end_amdhsa_kernel
	.section	.text._Z20warp_exchange_kernelILj256ELj16ELj32EN6common25StripedToBlockedShuffleOpEiEvPT3_j,"axG",@progbits,_Z20warp_exchange_kernelILj256ELj16ELj32EN6common25StripedToBlockedShuffleOpEiEvPT3_j,comdat
.Lfunc_end26:
	.size	_Z20warp_exchange_kernelILj256ELj16ELj32EN6common25StripedToBlockedShuffleOpEiEvPT3_j, .Lfunc_end26-_Z20warp_exchange_kernelILj256ELj16ELj32EN6common25StripedToBlockedShuffleOpEiEvPT3_j
                                        ; -- End function
	.section	.AMDGPU.csdata,"",@progbits
; Kernel info:
; codeLenInByte = 9276
; NumSgprs: 84
; NumVgprs: 97
; NumAgprs: 0
; TotalNumVgprs: 97
; ScratchSize: 0
; MemoryBound: 0
; FloatMode: 240
; IeeeMode: 1
; LDSByteSize: 0 bytes/workgroup (compile time only)
; SGPRBlocks: 10
; VGPRBlocks: 12
; NumSGPRsForWavesPerEU: 84
; NumVGPRsForWavesPerEU: 97
; AccumOffset: 100
; Occupancy: 4
; WaveLimiterHint : 0
; COMPUTE_PGM_RSRC2:SCRATCH_EN: 0
; COMPUTE_PGM_RSRC2:USER_SGPR: 6
; COMPUTE_PGM_RSRC2:TRAP_HANDLER: 0
; COMPUTE_PGM_RSRC2:TGID_X_EN: 1
; COMPUTE_PGM_RSRC2:TGID_Y_EN: 0
; COMPUTE_PGM_RSRC2:TGID_Z_EN: 0
; COMPUTE_PGM_RSRC2:TIDIG_COMP_CNT: 0
; COMPUTE_PGM_RSRC3_GFX90A:ACCUM_OFFSET: 24
; COMPUTE_PGM_RSRC3_GFX90A:TG_SPLIT: 0
	.section	.text._Z20warp_exchange_kernelILj256ELj32ELj32EN6common25StripedToBlockedShuffleOpEiEvPT3_j,"axG",@progbits,_Z20warp_exchange_kernelILj256ELj32ELj32EN6common25StripedToBlockedShuffleOpEiEvPT3_j,comdat
	.protected	_Z20warp_exchange_kernelILj256ELj32ELj32EN6common25StripedToBlockedShuffleOpEiEvPT3_j ; -- Begin function _Z20warp_exchange_kernelILj256ELj32ELj32EN6common25StripedToBlockedShuffleOpEiEvPT3_j
	.globl	_Z20warp_exchange_kernelILj256ELj32ELj32EN6common25StripedToBlockedShuffleOpEiEvPT3_j
	.p2align	8
	.type	_Z20warp_exchange_kernelILj256ELj32ELj32EN6common25StripedToBlockedShuffleOpEiEvPT3_j,@function
_Z20warp_exchange_kernelILj256ELj32ELj32EN6common25StripedToBlockedShuffleOpEiEvPT3_j: ; @_Z20warp_exchange_kernelILj256ELj32ELj32EN6common25StripedToBlockedShuffleOpEiEvPT3_j
; %bb.0:
	s_add_u32 s0, s0, s9
	s_load_dword s9, s[4:5], 0x8
	s_addc_u32 s1, s1, 0
	v_lshlrev_b32_e32 v32, 5, v0
	v_or_b32_e32 v33, 1, v32
	v_or_b32_e32 v11, 3, v32
	v_or_b32_e32 v10, 2, v32
	v_or_b32_e32 v13, 5, v32
	v_or_b32_e32 v12, 4, v32
	v_or_b32_e32 v15, 7, v32
	v_or_b32_e32 v14, 6, v32
	v_or_b32_e32 v17, 9, v32
	v_or_b32_e32 v16, 8, v32
	v_or_b32_e32 v19, 11, v32
	v_or_b32_e32 v18, 10, v32
	v_or_b32_e32 v21, 13, v32
	v_or_b32_e32 v20, 12, v32
	v_or_b32_e32 v23, 15, v32
	v_or_b32_e32 v22, 14, v32
	v_or_b32_e32 v25, 17, v32
	v_or_b32_e32 v24, 16, v32
	v_or_b32_e32 v27, 19, v32
	v_or_b32_e32 v26, 18, v32
	v_or_b32_e32 v29, 21, v32
	v_or_b32_e32 v28, 20, v32
	v_or_b32_e32 v31, 23, v32
	v_or_b32_e32 v30, 22, v32
	v_or_b32_e32 v5, 25, v32
	v_or_b32_e32 v4, 24, v32
	v_or_b32_e32 v7, 27, v32
	v_or_b32_e32 v6, 26, v32
	v_or_b32_e32 v1, 29, v32
	v_or_b32_e32 v0, 28, v32
	v_or_b32_e32 v3, 31, v32
	s_waitcnt lgkmcnt(0)
	s_cmp_eq_u32 s9, 0
	v_or_b32_e32 v2, 30, v32
	s_cbranch_scc1 .LBB27_4
; %bb.1:
	v_mbcnt_lo_u32_b32 v8, -1, 0
	v_mbcnt_hi_u32_b32 v8, -1, v8
	v_and_b32_e32 v9, 16, v8
	v_lshlrev_b32_e32 v34, 2, v9
	v_mov_b32_e32 v35, 0x44
	v_cmp_eq_u32_e32 vcc, 0, v9
	v_mov_b32_e32 v9, 0x48
	v_mov_b32_e32 v38, 0x4c
	;; [unrolled: 1-line block ×14, first 2 shown]
	v_and_b32_e32 v64, 8, v8
	v_and_b32_e32 v76, 4, v8
	;; [unrolled: 1-line block ×4, first 2 shown]
	v_cndmask_b32_e32 v36, 4, v35, vcc
	v_cndmask_b32_e32 v37, 8, v9, vcc
	;; [unrolled: 1-line block ×15, first 2 shown]
	v_cmp_eq_u32_e32 vcc, 0, v8
	v_lshlrev_b32_e32 v8, 2, v8
	v_xor_b32_e32 v8, 4, v8
	v_or_b32_e32 v97, 0, v8
	v_cndmask_b32_e64 v8, 16, 20, vcc
	v_add_u32_e32 v99, 0, v8
	v_cndmask_b32_e64 v8, 24, 28, vcc
	v_add_u32_e32 v100, 0, v8
	v_cndmask_b32_e64 v8, 32, 36, vcc
	v_lshlrev_b32_e32 v65, 2, v64
	v_cmp_eq_u32_e64 s[10:11], 0, v64
	v_lshlrev_b32_e32 v77, 2, v76
	v_cmp_eq_u32_e64 s[12:13], 0, v76
	v_lshlrev_b32_e32 v87, 2, v86
	v_cmp_eq_u32_e64 s[6:7], 0, v86
	v_add_u32_e32 v101, 0, v8
	v_cndmask_b32_e64 v8, 40, 44, vcc
	v_xor_b32_e32 v34, 64, v34
	v_xor_b32_e32 v65, 32, v65
	v_cndmask_b32_e64 v64, 4, 36, s[10:11]
	v_cndmask_b32_e64 v66, 8, 40, s[10:11]
	;; [unrolled: 1-line block ×11, first 2 shown]
	v_xor_b32_e32 v77, 16, v77
	v_cndmask_b32_e64 v76, 4, 20, s[12:13]
	v_cndmask_b32_e64 v78, 64, v40, s[12:13]
	;; [unrolled: 1-line block ×9, first 2 shown]
	v_xor_b32_e32 v87, 8, v87
	v_cndmask_b32_e64 v86, 4, 12, s[6:7]
	v_add_u32_e32 v102, 0, v8
	v_cndmask_b32_e64 v8, 48, 52, vcc
	v_cndmask_b32_e64 v91, v40, v44, s[6:7]
	v_cndmask_b32_e64 v98, 8, 12, vcc
	v_cndmask_b32_e32 v107, v40, v42, vcc
	v_cndmask_b32_e64 v92, v42, v46, s[6:7]
	v_cndmask_b32_e32 v108, v44, v46, vcc
	v_cndmask_b32_e64 v93, v48, v52, s[6:7]
	;; [unrolled: 2-line block ×7, first 2 shown]
	v_cndmask_b32_e32 v105, 64, v35, vcc
	v_add_u32_e32 v9, 0, v34
	v_add_u32_e32 v34, 0, v36
	;; [unrolled: 1-line block ×20, first 2 shown]
	v_cndmask_b32_e64 v53, 16, 48, s[10:11]
	v_cndmask_b32_e64 v54, 20, 52, s[10:11]
	;; [unrolled: 1-line block ×4, first 2 shown]
	v_add_u32_e32 v57, 0, v68
	v_add_u32_e32 v58, 0, v69
	v_add_u32_e32 v59, 0, v70
	v_add_u32_e32 v60, 0, v71
	v_add_u32_e32 v61, 0, v72
	v_add_u32_e32 v62, 0, v73
	v_add_u32_e32 v63, 0, v74
	v_add_u32_e32 v64, 0, v75
	v_add_u32_e32 v65, 0, v77
	v_add_u32_e32 v66, 0, v76
	v_cndmask_b32_e64 v67, 8, 24, s[12:13]
	v_cndmask_b32_e64 v68, 12, 28, s[12:13]
	v_cndmask_b32_e64 v69, 32, 48, s[12:13]
	v_cndmask_b32_e64 v70, 36, 52, s[12:13]
	v_cndmask_b32_e64 v71, 40, 56, s[12:13]
	v_cndmask_b32_e64 v72, 44, 60, s[12:13]
	v_add_u32_e32 v73, 0, v78
	v_add_u32_e32 v74, 0, v79
	v_add_u32_e32 v75, 0, v80
	v_add_u32_e32 v76, 0, v81
	v_add_u32_e32 v77, 0, v82
	v_add_u32_e32 v78, 0, v83
	v_add_u32_e32 v79, 0, v84
	v_add_u32_e32 v80, 0, v85
	v_or_b32_e32 v81, 0, v87
	v_or_b32_e32 v82, 0, v86
	v_cndmask_b32_e64 v83, 16, 24, s[6:7]
	v_cndmask_b32_e64 v84, 20, 28, s[6:7]
	;; [unrolled: 1-line block ×6, first 2 shown]
	v_add_u32_e32 v103, 0, v8
	v_cndmask_b32_e64 v8, 56, 60, vcc
	v_add_u32_e32 v53, 0, v53
	v_add_u32_e32 v54, 0, v54
	;; [unrolled: 1-line block ×24, first 2 shown]
	v_or_b32_e32 v98, 0, v98
	v_add_u32_e32 v104, 0, v8
	v_add_u32_e32 v105, 0, v105
	;; [unrolled: 1-line block ×9, first 2 shown]
	v_mov_b32_e32 v8, v32
.LBB27_2:                               ; =>This Inner Loop Header: Depth=1
	buffer_store_dword v8, off, s[0:3], 0
	buffer_store_dword v33, off, s[0:3], 0 offset:4
	buffer_store_dword v11, off, s[0:3], 0 offset:12
	;; [unrolled: 1-line block ×3, first 2 shown]
	s_waitcnt vmcnt(44)
	buffer_store_dword v12, off, s[0:3], 0 offset:16
	s_waitcnt vmcnt(44)
	buffer_store_dword v13, off, s[0:3], 0 offset:20
	s_waitcnt vmcnt(42)
	buffer_store_dword v15, off, s[0:3], 0 offset:28
	buffer_store_dword v14, off, s[0:3], 0 offset:24
	s_waitcnt vmcnt(42)
	buffer_store_dword v16, off, s[0:3], 0 offset:32
	s_waitcnt vmcnt(42)
	buffer_store_dword v17, off, s[0:3], 0 offset:36
	s_waitcnt vmcnt(40)
	buffer_store_dword v19, off, s[0:3], 0 offset:44
	buffer_store_dword v18, off, s[0:3], 0 offset:40
	;; [unrolled: 7-line block ×3, first 2 shown]
	s_waitcnt vmcnt(38)
	buffer_store_dword v24, off, s[0:3], 0 offset:64
	s_waitcnt vmcnt(38)
	buffer_store_dword v25, off, s[0:3], 0 offset:68
	buffer_load_dword v8, v9, s[0:3], 0 offen
	s_add_i32 s9, s9, -1
	s_cmp_lg_u32 s9, 0
	s_waitcnt vmcnt(0)
	ds_swizzle_b32 v8, v8 offset:swizzle(SWAP,16)
	s_waitcnt lgkmcnt(0)
	buffer_store_dword v8, v9, s[0:3], 0 offen
	buffer_load_dword v8, v34, s[0:3], 0 offen
	s_nop 0
	buffer_store_dword v26, off, s[0:3], 0 offset:72
	buffer_store_dword v27, off, s[0:3], 0 offset:76
	s_waitcnt vmcnt(2)
	ds_swizzle_b32 v8, v8 offset:swizzle(SWAP,16)
	s_waitcnt lgkmcnt(0)
	buffer_store_dword v8, v34, s[0:3], 0 offen
	buffer_load_dword v8, v35, s[0:3], 0 offen
	s_waitcnt vmcnt(0)
	ds_swizzle_b32 v8, v8 offset:swizzle(SWAP,16)
	s_waitcnt lgkmcnt(0)
	buffer_store_dword v8, v35, s[0:3], 0 offen
	buffer_load_dword v8, v36, s[0:3], 0 offen
	s_nop 0
	buffer_store_dword v28, off, s[0:3], 0 offset:80
	buffer_store_dword v29, off, s[0:3], 0 offset:84
	s_waitcnt vmcnt(2)
	ds_swizzle_b32 v8, v8 offset:swizzle(SWAP,16)
	s_waitcnt lgkmcnt(0)
	buffer_store_dword v8, v36, s[0:3], 0 offen
	buffer_load_dword v8, v37, s[0:3], 0 offen
	;; [unrolled: 13-line block ×4, first 2 shown]
	s_waitcnt vmcnt(0)
	ds_swizzle_b32 v4, v4 offset:swizzle(SWAP,16)
	s_waitcnt lgkmcnt(0)
	buffer_store_dword v4, v41, s[0:3], 0 offen
	buffer_load_dword v4, v42, s[0:3], 0 offen
	s_nop 0
	buffer_load_dword v5, v49, s[0:3], 0 offen
	s_nop 0
	buffer_store_dword v6, off, s[0:3], 0 offset:104
	buffer_store_dword v7, off, s[0:3], 0 offset:108
	s_waitcnt vmcnt(3)
	ds_swizzle_b32 v4, v4 offset:swizzle(SWAP,16)
	s_waitcnt vmcnt(2)
	ds_swizzle_b32 v5, v5 offset:swizzle(SWAP,8)
	s_waitcnt lgkmcnt(1)
	buffer_store_dword v4, v42, s[0:3], 0 offen
	s_waitcnt lgkmcnt(0)
	buffer_store_dword v5, v49, s[0:3], 0 offen
	buffer_load_dword v4, v43, s[0:3], 0 offen
	s_nop 0
	buffer_load_dword v5, v50, s[0:3], 0 offen
	s_waitcnt vmcnt(1)
	ds_swizzle_b32 v4, v4 offset:swizzle(SWAP,16)
	s_waitcnt vmcnt(0)
	ds_swizzle_b32 v5, v5 offset:swizzle(SWAP,8)
	s_waitcnt lgkmcnt(1)
	buffer_store_dword v4, v43, s[0:3], 0 offen
	s_waitcnt lgkmcnt(0)
	buffer_store_dword v5, v50, s[0:3], 0 offen
	buffer_load_dword v4, v44, s[0:3], 0 offen
	s_nop 0
	buffer_load_dword v5, v51, s[0:3], 0 offen
	s_nop 0
	buffer_store_dword v0, off, s[0:3], 0 offset:112
	buffer_store_dword v1, off, s[0:3], 0 offset:116
	s_waitcnt vmcnt(3)
	ds_swizzle_b32 v0, v4 offset:swizzle(SWAP,16)
	s_waitcnt vmcnt(2)
	ds_swizzle_b32 v1, v5 offset:swizzle(SWAP,8)
	s_waitcnt lgkmcnt(1)
	buffer_store_dword v0, v44, s[0:3], 0 offen
	s_waitcnt lgkmcnt(0)
	buffer_store_dword v1, v51, s[0:3], 0 offen
	buffer_load_dword v0, v45, s[0:3], 0 offen
	s_nop 0
	buffer_load_dword v1, v52, s[0:3], 0 offen
	s_waitcnt vmcnt(1)
	ds_swizzle_b32 v0, v0 offset:swizzle(SWAP,16)
	s_waitcnt vmcnt(0)
	ds_swizzle_b32 v1, v1 offset:swizzle(SWAP,8)
	s_waitcnt lgkmcnt(1)
	buffer_store_dword v0, v45, s[0:3], 0 offen
	s_waitcnt lgkmcnt(0)
	buffer_store_dword v1, v52, s[0:3], 0 offen
	buffer_load_dword v0, v46, s[0:3], 0 offen
	s_nop 0
	buffer_load_dword v1, v53, s[0:3], 0 offen
	s_nop 0
	buffer_store_dword v2, off, s[0:3], 0 offset:120
	buffer_store_dword v3, off, s[0:3], 0 offset:124
	s_waitcnt vmcnt(3)
	ds_swizzle_b32 v0, v0 offset:swizzle(SWAP,16)
	s_waitcnt vmcnt(2)
	ds_swizzle_b32 v1, v1 offset:swizzle(SWAP,8)
	s_waitcnt lgkmcnt(1)
	buffer_store_dword v0, v46, s[0:3], 0 offen
	s_waitcnt lgkmcnt(0)
	buffer_store_dword v1, v53, s[0:3], 0 offen
	buffer_load_dword v0, v47, s[0:3], 0 offen
	s_nop 0
	buffer_load_dword v1, v54, s[0:3], 0 offen
	buffer_load_dword v2, v65, s[0:3], 0 offen
	s_waitcnt vmcnt(2)
	ds_swizzle_b32 v0, v0 offset:swizzle(SWAP,16)
	s_waitcnt vmcnt(1)
	ds_swizzle_b32 v1, v1 offset:swizzle(SWAP,8)
	;; [unrolled: 2-line block ×3, first 2 shown]
	s_waitcnt lgkmcnt(2)
	buffer_store_dword v0, v47, s[0:3], 0 offen
	s_waitcnt lgkmcnt(1)
	buffer_store_dword v1, v54, s[0:3], 0 offen
	buffer_load_dword v0, v48, s[0:3], 0 offen
	s_nop 0
	buffer_load_dword v1, v55, s[0:3], 0 offen
	s_waitcnt vmcnt(1)
	ds_swizzle_b32 v0, v0 offset:swizzle(SWAP,16)
	s_waitcnt vmcnt(0)
	ds_swizzle_b32 v1, v1 offset:swizzle(SWAP,8)
	s_waitcnt lgkmcnt(2)
	buffer_store_dword v2, v65, s[0:3], 0 offen
	buffer_load_dword v2, v66, s[0:3], 0 offen
	s_waitcnt lgkmcnt(1)
	buffer_store_dword v0, v48, s[0:3], 0 offen
	s_waitcnt lgkmcnt(0)
	buffer_store_dword v1, v55, s[0:3], 0 offen
	buffer_load_dword v0, v57, s[0:3], 0 offen
	s_nop 0
	buffer_load_dword v1, v56, s[0:3], 0 offen
	s_waitcnt vmcnt(4)
	ds_swizzle_b32 v2, v2 offset:swizzle(SWAP,4)
	s_waitcnt vmcnt(1)
	ds_swizzle_b32 v0, v0 offset:swizzle(SWAP,8)
	;; [unrolled: 2-line block ×3, first 2 shown]
	s_waitcnt lgkmcnt(2)
	buffer_store_dword v2, v66, s[0:3], 0 offen
	buffer_load_dword v2, v67, s[0:3], 0 offen
	s_waitcnt lgkmcnt(1)
	buffer_store_dword v0, v57, s[0:3], 0 offen
	buffer_load_dword v0, v58, s[0:3], 0 offen
	s_waitcnt vmcnt(2)
	ds_swizzle_b32 v2, v2 offset:swizzle(SWAP,4)
	s_waitcnt lgkmcnt(1)
	buffer_store_dword v1, v56, s[0:3], 0 offen
	s_waitcnt lgkmcnt(0)
	buffer_store_dword v2, v67, s[0:3], 0 offen
	s_waitcnt vmcnt(2)
	ds_swizzle_b32 v0, v0 offset:swizzle(SWAP,8)
	buffer_load_dword v1, v68, s[0:3], 0 offen
	buffer_load_dword v2, v81, s[0:3], 0 offen
	s_waitcnt vmcnt(1)
	ds_swizzle_b32 v1, v1 offset:swizzle(SWAP,4)
	s_waitcnt lgkmcnt(1)
	buffer_store_dword v0, v58, s[0:3], 0 offen
	buffer_load_dword v0, v59, s[0:3], 0 offen
	s_waitcnt vmcnt(2)
	ds_swizzle_b32 v2, v2 offset:swizzle(SWAP,2)
	s_waitcnt lgkmcnt(1)
	buffer_store_dword v1, v68, s[0:3], 0 offen
	s_waitcnt lgkmcnt(0)
	buffer_store_dword v2, v81, s[0:3], 0 offen
	buffer_load_dword v1, v69, s[0:3], 0 offen
	s_nop 0
	buffer_load_dword v2, v82, s[0:3], 0 offen
	s_waitcnt vmcnt(4)
	ds_swizzle_b32 v0, v0 offset:swizzle(SWAP,8)
	s_waitcnt lgkmcnt(0)
	buffer_store_dword v0, v59, s[0:3], 0 offen
	buffer_load_dword v0, v60, s[0:3], 0 offen
	s_waitcnt vmcnt(3)
	ds_swizzle_b32 v1, v1 offset:swizzle(SWAP,4)
	s_waitcnt vmcnt(2)
	ds_swizzle_b32 v2, v2 offset:swizzle(SWAP,2)
	s_waitcnt lgkmcnt(1)
	buffer_store_dword v1, v69, s[0:3], 0 offen
	s_waitcnt lgkmcnt(0)
	buffer_store_dword v2, v82, s[0:3], 0 offen
	buffer_load_dword v1, v70, s[0:3], 0 offen
	s_nop 0
	buffer_load_dword v2, v83, s[0:3], 0 offen
	buffer_load_dword v3, v97, s[0:3], 0 offen
	s_waitcnt vmcnt(5)
	ds_swizzle_b32 v0, v0 offset:swizzle(SWAP,8)
	s_waitcnt lgkmcnt(0)
	buffer_store_dword v0, v60, s[0:3], 0 offen
	buffer_load_dword v0, v61, s[0:3], 0 offen
	s_waitcnt vmcnt(4)
	ds_swizzle_b32 v1, v1 offset:swizzle(SWAP,4)
	s_waitcnt vmcnt(3)
	ds_swizzle_b32 v2, v2 offset:swizzle(SWAP,2)
	s_waitcnt lgkmcnt(1)
	buffer_store_dword v1, v70, s[0:3], 0 offen
	s_waitcnt lgkmcnt(0)
	buffer_store_dword v2, v83, s[0:3], 0 offen
	buffer_load_dword v1, v71, s[0:3], 0 offen
	s_nop 0
	buffer_load_dword v2, v84, s[0:3], 0 offen
	buffer_load_dword v4, v98, s[0:3], 0 offen
	s_waitcnt vmcnt(7)
	ds_swizzle_b32 v3, v3 offset:swizzle(SWAP,1)
	s_waitcnt vmcnt(5)
	ds_swizzle_b32 v0, v0 offset:swizzle(SWAP,8)
	s_waitcnt lgkmcnt(0)
	buffer_store_dword v0, v61, s[0:3], 0 offen
	buffer_load_dword v0, v62, s[0:3], 0 offen
	s_waitcnt vmcnt(4)
	ds_swizzle_b32 v1, v1 offset:swizzle(SWAP,4)
	s_waitcnt vmcnt(3)
	ds_swizzle_b32 v2, v2 offset:swizzle(SWAP,2)
	s_waitcnt lgkmcnt(1)
	buffer_store_dword v1, v71, s[0:3], 0 offen
	s_waitcnt lgkmcnt(0)
	buffer_store_dword v2, v84, s[0:3], 0 offen
	buffer_load_dword v1, v72, s[0:3], 0 offen
	s_nop 0
	buffer_load_dword v2, v85, s[0:3], 0 offen
	buffer_load_dword v5, v99, s[0:3], 0 offen
	s_waitcnt vmcnt(5)
	ds_swizzle_b32 v0, v0 offset:swizzle(SWAP,8)
	s_waitcnt lgkmcnt(0)
	buffer_store_dword v0, v62, s[0:3], 0 offen
	buffer_load_dword v0, v63, s[0:3], 0 offen
	s_nop 0
	buffer_load_dword v6, v73, s[0:3], 0 offen
	s_waitcnt vmcnt(5)
	ds_swizzle_b32 v1, v1 offset:swizzle(SWAP,4)
	s_waitcnt vmcnt(4)
	ds_swizzle_b32 v2, v2 offset:swizzle(SWAP,2)
	s_waitcnt lgkmcnt(1)
	buffer_store_dword v1, v72, s[0:3], 0 offen
	s_waitcnt lgkmcnt(0)
	buffer_store_dword v2, v85, s[0:3], 0 offen
	buffer_load_dword v1, v86, s[0:3], 0 offen
	s_nop 0
	buffer_load_dword v2, v100, s[0:3], 0 offen
	s_waitcnt vmcnt(5)
	ds_swizzle_b32 v0, v0 offset:swizzle(SWAP,8)
	s_waitcnt vmcnt(4)
	ds_swizzle_b32 v6, v6 offset:swizzle(SWAP,4)
	s_waitcnt lgkmcnt(1)
	buffer_store_dword v0, v63, s[0:3], 0 offen
	;; [unrolled: 11-line block ×3, first 2 shown]
	buffer_load_dword v1, v87, s[0:3], 0 offen
	s_nop 0
	buffer_load_dword v7, v101, s[0:3], 0 offen
	s_waitcnt vmcnt(4)
	ds_swizzle_b32 v0, v0 offset:swizzle(SWAP,8)
	s_waitcnt vmcnt(3)
	ds_swizzle_b32 v6, v6 offset:swizzle(SWAP,4)
	s_waitcnt lgkmcnt(1)
	buffer_store_dword v0, v64, s[0:3], 0 offen
	s_waitcnt lgkmcnt(0)
	buffer_store_dword v6, v74, s[0:3], 0 offen
	buffer_load_dword v0, v75, s[0:3], 0 offen
	s_nop 0
	buffer_load_dword v6, v77, s[0:3], 0 offen
	s_waitcnt vmcnt(5)
	ds_swizzle_b32 v1, v1 offset:swizzle(SWAP,2)
	s_waitcnt lgkmcnt(0)
	buffer_store_dword v1, v87, s[0:3], 0 offen
	buffer_load_dword v1, v88, s[0:3], 0 offen
	s_nop 0
	buffer_load_dword v18, v102, s[0:3], 0 offen
	s_waitcnt vmcnt(4)
	ds_swizzle_b32 v0, v0 offset:swizzle(SWAP,4)
	s_waitcnt vmcnt(3)
	ds_swizzle_b32 v6, v6 offset:swizzle(SWAP,4)
	s_waitcnt lgkmcnt(1)
	buffer_store_dword v0, v75, s[0:3], 0 offen
	s_waitcnt lgkmcnt(0)
	buffer_store_dword v6, v77, s[0:3], 0 offen
	buffer_load_dword v0, v78, s[0:3], 0 offen
	s_nop 0
	buffer_load_dword v6, v76, s[0:3], 0 offen
	s_waitcnt vmcnt(5)
	ds_swizzle_b32 v1, v1 offset:swizzle(SWAP,2)
	s_waitcnt lgkmcnt(0)
	buffer_store_dword v1, v88, s[0:3], 0 offen
	buffer_load_dword v1, v89, s[0:3], 0 offen
	s_nop 0
	buffer_load_dword v20, v103, s[0:3], 0 offen
	s_waitcnt vmcnt(4)
	ds_swizzle_b32 v0, v0 offset:swizzle(SWAP,4)
	s_waitcnt vmcnt(3)
	ds_swizzle_b32 v6, v6 offset:swizzle(SWAP,4)
	s_waitcnt lgkmcnt(1)
	buffer_store_dword v0, v78, s[0:3], 0 offen
	buffer_load_dword v0, v79, s[0:3], 0 offen
	s_waitcnt vmcnt(3)
	ds_swizzle_b32 v1, v1 offset:swizzle(SWAP,2)
	s_waitcnt lgkmcnt(1)
	buffer_store_dword v6, v76, s[0:3], 0 offen
	s_waitcnt lgkmcnt(0)
	buffer_store_dword v1, v89, s[0:3], 0 offen
	buffer_load_dword v1, v90, s[0:3], 0 offen
	s_nop 0
	buffer_load_dword v6, v104, s[0:3], 0 offen
	s_waitcnt vmcnt(4)
	ds_swizzle_b32 v0, v0 offset:swizzle(SWAP,4)
	s_waitcnt lgkmcnt(0)
	buffer_store_dword v0, v79, s[0:3], 0 offen
	buffer_load_dword v0, v80, s[0:3], 0 offen
	s_nop 0
	buffer_load_dword v8, v91, s[0:3], 0 offen
	buffer_load_dword v10, v93, s[0:3], 0 offen
	s_waitcnt vmcnt(5)
	ds_swizzle_b32 v1, v1 offset:swizzle(SWAP,2)
	s_waitcnt lgkmcnt(0)
	buffer_store_dword v1, v90, s[0:3], 0 offen
	buffer_load_dword v1, v105, s[0:3], 0 offen
	s_waitcnt vmcnt(4)
	ds_swizzle_b32 v0, v0 offset:swizzle(SWAP,4)
	s_waitcnt vmcnt(3)
	ds_swizzle_b32 v8, v8 offset:swizzle(SWAP,2)
	;; [unrolled: 2-line block ×3, first 2 shown]
	s_waitcnt lgkmcnt(2)
	buffer_store_dword v0, v80, s[0:3], 0 offen
	s_waitcnt lgkmcnt(1)
	buffer_store_dword v8, v91, s[0:3], 0 offen
	;; [unrolled: 2-line block ×3, first 2 shown]
	buffer_load_dword v0, v95, s[0:3], 0 offen
	buffer_load_dword v12, v92, s[0:3], 0 offen
	;; [unrolled: 1-line block ×4, first 2 shown]
	s_waitcnt vmcnt(7)
	ds_swizzle_b32 v1, v1 offset:swizzle(SWAP,1)
	buffer_store_dword v3, v97, s[0:3], 0 offen
	ds_swizzle_b32 v3, v4 offset:swizzle(SWAP,1)
	s_waitcnt vmcnt(4)
	ds_swizzle_b32 v0, v0 offset:swizzle(SWAP,2)
	s_waitcnt vmcnt(2)
	ds_swizzle_b32 v4, v13 offset:swizzle(SWAP,2)
	s_waitcnt lgkmcnt(1)
	buffer_store_dword v0, v95, s[0:3], 0 offen
	buffer_load_dword v0, v96, s[0:3], 0 offen
	s_nop 0
	buffer_load_dword v8, off, s[0:3], 0
	buffer_load_dword v33, off, s[0:3], 0 offset:4
	s_waitcnt vmcnt(2)
	ds_swizzle_b32 v0, v0 offset:swizzle(SWAP,2)
	buffer_store_dword v3, v98, s[0:3], 0 offen
	ds_swizzle_b32 v3, v5 offset:swizzle(SWAP,1)
	buffer_load_dword v10, off, s[0:3], 0 offset:8
	buffer_load_dword v11, off, s[0:3], 0 offset:12
	s_waitcnt lgkmcnt(0)
	buffer_store_dword v3, v99, s[0:3], 0 offen
	ds_swizzle_b32 v3, v12 offset:swizzle(SWAP,2)
	s_waitcnt lgkmcnt(0)
	buffer_store_dword v3, v92, s[0:3], 0 offen
	buffer_store_dword v4, v94, s[0:3], 0 offen
	buffer_load_dword v3, v107, s[0:3], 0 offen
	s_nop 0
	buffer_load_dword v4, v108, s[0:3], 0 offen
	buffer_load_dword v5, v109, s[0:3], 0 offen
	;; [unrolled: 1-line block ×3, first 2 shown]
	s_nop 0
	buffer_store_dword v0, v96, s[0:3], 0 offen
	buffer_load_dword v0, v111, s[0:3], 0 offen
	s_nop 0
	buffer_load_dword v113, v112, s[0:3], 0 offen
	buffer_load_dword v12, off, s[0:3], 0 offset:16
	buffer_load_dword v13, off, s[0:3], 0 offset:20
	s_waitcnt vmcnt(3)
	ds_swizzle_b32 v0, v0 offset:swizzle(SWAP,1)
	buffer_store_dword v2, v100, s[0:3], 0 offen
	ds_swizzle_b32 v2, v7 offset:swizzle(SWAP,1)
	buffer_load_dword v14, off, s[0:3], 0 offset:24
	buffer_load_dword v15, off, s[0:3], 0 offset:28
	s_waitcnt lgkmcnt(0)
	buffer_store_dword v2, v101, s[0:3], 0 offen
	ds_swizzle_b32 v2, v18 offset:swizzle(SWAP,1)
	buffer_load_dword v16, off, s[0:3], 0 offset:32
	buffer_load_dword v17, off, s[0:3], 0 offset:36
	s_waitcnt lgkmcnt(0)
	;; [unrolled: 5-line block ×4, first 2 shown]
	buffer_store_dword v2, v104, s[0:3], 0 offen
	buffer_load_dword v22, off, s[0:3], 0 offset:56
	buffer_load_dword v23, off, s[0:3], 0 offset:60
	ds_swizzle_b32 v2, v4 offset:swizzle(SWAP,1)
	buffer_store_dword v1, v105, s[0:3], 0 offen
	ds_swizzle_b32 v1, v26 offset:swizzle(SWAP,1)
	buffer_load_dword v24, off, s[0:3], 0 offset:64
	buffer_load_dword v25, off, s[0:3], 0 offset:68
	ds_swizzle_b32 v4, v28 offset:swizzle(SWAP,1)
	s_waitcnt lgkmcnt(1)
	buffer_store_dword v1, v106, s[0:3], 0 offen
	ds_swizzle_b32 v1, v3 offset:swizzle(SWAP,1)
	ds_swizzle_b32 v3, v5 offset:swizzle(SWAP,1)
	buffer_load_dword v26, off, s[0:3], 0 offset:72
	buffer_load_dword v27, off, s[0:3], 0 offset:76
	s_waitcnt lgkmcnt(1)
	buffer_store_dword v1, v107, s[0:3], 0 offen
	buffer_store_dword v2, v108, s[0:3], 0 offen
	s_waitcnt lgkmcnt(0)
	buffer_store_dword v3, v109, s[0:3], 0 offen
	buffer_store_dword v4, v110, s[0:3], 0 offen
	s_waitcnt vmcnt(27)
	ds_swizzle_b32 v1, v113 offset:swizzle(SWAP,1)
	buffer_load_dword v28, off, s[0:3], 0 offset:80
	buffer_load_dword v29, off, s[0:3], 0 offset:84
	;; [unrolled: 1-line block ×8, first 2 shown]
	s_nop 0
	buffer_store_dword v0, v111, s[0:3], 0 offen
	s_waitcnt lgkmcnt(0)
	buffer_store_dword v1, v112, s[0:3], 0 offen
	buffer_load_dword v0, off, s[0:3], 0 offset:112
	s_nop 0
	buffer_load_dword v1, off, s[0:3], 0 offset:116
	buffer_load_dword v3, off, s[0:3], 0 offset:124
	;; [unrolled: 1-line block ×3, first 2 shown]
	; wave barrier
	s_cbranch_scc1 .LBB27_2
; %bb.3:
	v_mov_b32_e32 v9, v33
	s_branch .LBB27_5
.LBB27_4:
	v_pk_mov_b32 v[8:9], v[32:33], v[32:33] op_sel:[0,1]
.LBB27_5:
	s_load_dwordx2 s[4:5], s[4:5], 0x0
	v_lshl_or_b32 v32, s8, 13, v32
	v_mov_b32_e32 v33, 0
	v_lshlrev_b64 v[32:33], 2, v[32:33]
	s_waitcnt lgkmcnt(0)
	v_mov_b32_e32 v34, s5
	v_add_co_u32_e32 v32, vcc, s4, v32
	v_addc_co_u32_e32 v33, vcc, v34, v33, vcc
	global_store_dwordx4 v[32:33], v[8:11], off
	s_waitcnt vmcnt(37)
	global_store_dwordx4 v[32:33], v[12:15], off offset:16
	s_waitcnt vmcnt(32)
	global_store_dwordx4 v[32:33], v[16:19], off offset:32
	;; [unrolled: 2-line block ×7, first 2 shown]
	s_endpgm
	.section	.rodata,"a",@progbits
	.p2align	6, 0x0
	.amdhsa_kernel _Z20warp_exchange_kernelILj256ELj32ELj32EN6common25StripedToBlockedShuffleOpEiEvPT3_j
		.amdhsa_group_segment_fixed_size 0
		.amdhsa_private_segment_fixed_size 144
		.amdhsa_kernarg_size 12
		.amdhsa_user_sgpr_count 8
		.amdhsa_user_sgpr_private_segment_buffer 1
		.amdhsa_user_sgpr_dispatch_ptr 0
		.amdhsa_user_sgpr_queue_ptr 0
		.amdhsa_user_sgpr_kernarg_segment_ptr 1
		.amdhsa_user_sgpr_dispatch_id 0
		.amdhsa_user_sgpr_flat_scratch_init 1
		.amdhsa_user_sgpr_kernarg_preload_length 0
		.amdhsa_user_sgpr_kernarg_preload_offset 0
		.amdhsa_user_sgpr_private_segment_size 0
		.amdhsa_uses_dynamic_stack 0
		.amdhsa_system_sgpr_private_segment_wavefront_offset 1
		.amdhsa_system_sgpr_workgroup_id_x 1
		.amdhsa_system_sgpr_workgroup_id_y 0
		.amdhsa_system_sgpr_workgroup_id_z 0
		.amdhsa_system_sgpr_workgroup_info 0
		.amdhsa_system_vgpr_workitem_id 0
		.amdhsa_next_free_vgpr 114
		.amdhsa_next_free_sgpr 14
		.amdhsa_accum_offset 116
		.amdhsa_reserve_vcc 1
		.amdhsa_reserve_flat_scratch 0
		.amdhsa_float_round_mode_32 0
		.amdhsa_float_round_mode_16_64 0
		.amdhsa_float_denorm_mode_32 3
		.amdhsa_float_denorm_mode_16_64 3
		.amdhsa_dx10_clamp 1
		.amdhsa_ieee_mode 1
		.amdhsa_fp16_overflow 0
		.amdhsa_tg_split 0
		.amdhsa_exception_fp_ieee_invalid_op 0
		.amdhsa_exception_fp_denorm_src 0
		.amdhsa_exception_fp_ieee_div_zero 0
		.amdhsa_exception_fp_ieee_overflow 0
		.amdhsa_exception_fp_ieee_underflow 0
		.amdhsa_exception_fp_ieee_inexact 0
		.amdhsa_exception_int_div_zero 0
	.end_amdhsa_kernel
	.section	.text._Z20warp_exchange_kernelILj256ELj32ELj32EN6common25StripedToBlockedShuffleOpEiEvPT3_j,"axG",@progbits,_Z20warp_exchange_kernelILj256ELj32ELj32EN6common25StripedToBlockedShuffleOpEiEvPT3_j,comdat
.Lfunc_end27:
	.size	_Z20warp_exchange_kernelILj256ELj32ELj32EN6common25StripedToBlockedShuffleOpEiEvPT3_j, .Lfunc_end27-_Z20warp_exchange_kernelILj256ELj32ELj32EN6common25StripedToBlockedShuffleOpEiEvPT3_j
                                        ; -- End function
	.section	.AMDGPU.csdata,"",@progbits
; Kernel info:
; codeLenInByte = 4556
; NumSgprs: 18
; NumVgprs: 114
; NumAgprs: 0
; TotalNumVgprs: 114
; ScratchSize: 144
; MemoryBound: 0
; FloatMode: 240
; IeeeMode: 1
; LDSByteSize: 0 bytes/workgroup (compile time only)
; SGPRBlocks: 2
; VGPRBlocks: 14
; NumSGPRsForWavesPerEU: 18
; NumVGPRsForWavesPerEU: 114
; AccumOffset: 116
; Occupancy: 4
; WaveLimiterHint : 0
; COMPUTE_PGM_RSRC2:SCRATCH_EN: 1
; COMPUTE_PGM_RSRC2:USER_SGPR: 8
; COMPUTE_PGM_RSRC2:TRAP_HANDLER: 0
; COMPUTE_PGM_RSRC2:TGID_X_EN: 1
; COMPUTE_PGM_RSRC2:TGID_Y_EN: 0
; COMPUTE_PGM_RSRC2:TGID_Z_EN: 0
; COMPUTE_PGM_RSRC2:TIDIG_COMP_CNT: 0
; COMPUTE_PGM_RSRC3_GFX90A:ACCUM_OFFSET: 28
; COMPUTE_PGM_RSRC3_GFX90A:TG_SPLIT: 0
	.section	.text._Z20warp_exchange_kernelILj256ELj1ELj16E18ScatterToStripedOpiEvPT3_j,"axG",@progbits,_Z20warp_exchange_kernelILj256ELj1ELj16E18ScatterToStripedOpiEvPT3_j,comdat
	.protected	_Z20warp_exchange_kernelILj256ELj1ELj16E18ScatterToStripedOpiEvPT3_j ; -- Begin function _Z20warp_exchange_kernelILj256ELj1ELj16E18ScatterToStripedOpiEvPT3_j
	.globl	_Z20warp_exchange_kernelILj256ELj1ELj16E18ScatterToStripedOpiEvPT3_j
	.p2align	8
	.type	_Z20warp_exchange_kernelILj256ELj1ELj16E18ScatterToStripedOpiEvPT3_j,@function
_Z20warp_exchange_kernelILj256ELj1ELj16E18ScatterToStripedOpiEvPT3_j: ; @_Z20warp_exchange_kernelILj256ELj1ELj16E18ScatterToStripedOpiEvPT3_j
; %bb.0:
	s_load_dword s0, s[4:5], 0x8
	s_waitcnt lgkmcnt(0)
	s_cmp_eq_u32 s0, 0
	s_cbranch_scc1 .LBB28_3
; %bb.1:
	v_lshlrev_b32_e32 v2, 2, v0
	v_and_b32_e32 v3, 0x3c0, v2
	v_mbcnt_lo_u32_b32 v2, -1, 0
	v_not_b32_e32 v1, v0
	v_mbcnt_hi_u32_b32 v2, -1, v2
	v_and_b32_e32 v1, 15, v1
	v_and_b32_e32 v4, 15, v2
	v_lshl_or_b32 v2, v1, 2, v3
	v_lshl_or_b32 v3, v4, 2, v3
	v_mov_b32_e32 v1, v0
.LBB28_2:                               ; =>This Inner Loop Header: Depth=1
	s_waitcnt lgkmcnt(0)
	ds_write_b32 v2, v1
	; wave barrier
	ds_read_b32 v1, v3
	s_add_i32 s0, s0, -1
	s_cmp_lg_u32 s0, 0
	; wave barrier
	s_cbranch_scc1 .LBB28_2
	s_branch .LBB28_4
.LBB28_3:
	v_mov_b32_e32 v1, v0
.LBB28_4:
	s_load_dwordx2 s[0:1], s[4:5], 0x0
	v_lshl_or_b32 v2, s6, 8, v0
	v_mov_b32_e32 v3, 0
	v_lshlrev_b64 v[2:3], 2, v[2:3]
	s_waitcnt lgkmcnt(0)
	v_mov_b32_e32 v0, s1
	v_add_co_u32_e32 v2, vcc, s0, v2
	v_addc_co_u32_e32 v3, vcc, v0, v3, vcc
	global_store_dword v[2:3], v1, off
	s_endpgm
	.section	.rodata,"a",@progbits
	.p2align	6, 0x0
	.amdhsa_kernel _Z20warp_exchange_kernelILj256ELj1ELj16E18ScatterToStripedOpiEvPT3_j
		.amdhsa_group_segment_fixed_size 1024
		.amdhsa_private_segment_fixed_size 0
		.amdhsa_kernarg_size 12
		.amdhsa_user_sgpr_count 6
		.amdhsa_user_sgpr_private_segment_buffer 1
		.amdhsa_user_sgpr_dispatch_ptr 0
		.amdhsa_user_sgpr_queue_ptr 0
		.amdhsa_user_sgpr_kernarg_segment_ptr 1
		.amdhsa_user_sgpr_dispatch_id 0
		.amdhsa_user_sgpr_flat_scratch_init 0
		.amdhsa_user_sgpr_kernarg_preload_length 0
		.amdhsa_user_sgpr_kernarg_preload_offset 0
		.amdhsa_user_sgpr_private_segment_size 0
		.amdhsa_uses_dynamic_stack 0
		.amdhsa_system_sgpr_private_segment_wavefront_offset 0
		.amdhsa_system_sgpr_workgroup_id_x 1
		.amdhsa_system_sgpr_workgroup_id_y 0
		.amdhsa_system_sgpr_workgroup_id_z 0
		.amdhsa_system_sgpr_workgroup_info 0
		.amdhsa_system_vgpr_workitem_id 0
		.amdhsa_next_free_vgpr 5
		.amdhsa_next_free_sgpr 7
		.amdhsa_accum_offset 8
		.amdhsa_reserve_vcc 1
		.amdhsa_reserve_flat_scratch 0
		.amdhsa_float_round_mode_32 0
		.amdhsa_float_round_mode_16_64 0
		.amdhsa_float_denorm_mode_32 3
		.amdhsa_float_denorm_mode_16_64 3
		.amdhsa_dx10_clamp 1
		.amdhsa_ieee_mode 1
		.amdhsa_fp16_overflow 0
		.amdhsa_tg_split 0
		.amdhsa_exception_fp_ieee_invalid_op 0
		.amdhsa_exception_fp_denorm_src 0
		.amdhsa_exception_fp_ieee_div_zero 0
		.amdhsa_exception_fp_ieee_overflow 0
		.amdhsa_exception_fp_ieee_underflow 0
		.amdhsa_exception_fp_ieee_inexact 0
		.amdhsa_exception_int_div_zero 0
	.end_amdhsa_kernel
	.section	.text._Z20warp_exchange_kernelILj256ELj1ELj16E18ScatterToStripedOpiEvPT3_j,"axG",@progbits,_Z20warp_exchange_kernelILj256ELj1ELj16E18ScatterToStripedOpiEvPT3_j,comdat
.Lfunc_end28:
	.size	_Z20warp_exchange_kernelILj256ELj1ELj16E18ScatterToStripedOpiEvPT3_j, .Lfunc_end28-_Z20warp_exchange_kernelILj256ELj1ELj16E18ScatterToStripedOpiEvPT3_j
                                        ; -- End function
	.section	.AMDGPU.csdata,"",@progbits
; Kernel info:
; codeLenInByte = 176
; NumSgprs: 11
; NumVgprs: 5
; NumAgprs: 0
; TotalNumVgprs: 5
; ScratchSize: 0
; MemoryBound: 0
; FloatMode: 240
; IeeeMode: 1
; LDSByteSize: 1024 bytes/workgroup (compile time only)
; SGPRBlocks: 1
; VGPRBlocks: 0
; NumSGPRsForWavesPerEU: 11
; NumVGPRsForWavesPerEU: 5
; AccumOffset: 8
; Occupancy: 8
; WaveLimiterHint : 0
; COMPUTE_PGM_RSRC2:SCRATCH_EN: 0
; COMPUTE_PGM_RSRC2:USER_SGPR: 6
; COMPUTE_PGM_RSRC2:TRAP_HANDLER: 0
; COMPUTE_PGM_RSRC2:TGID_X_EN: 1
; COMPUTE_PGM_RSRC2:TGID_Y_EN: 0
; COMPUTE_PGM_RSRC2:TGID_Z_EN: 0
; COMPUTE_PGM_RSRC2:TIDIG_COMP_CNT: 0
; COMPUTE_PGM_RSRC3_GFX90A:ACCUM_OFFSET: 1
; COMPUTE_PGM_RSRC3_GFX90A:TG_SPLIT: 0
	.section	.text._Z20warp_exchange_kernelILj256ELj1ELj32E18ScatterToStripedOpiEvPT3_j,"axG",@progbits,_Z20warp_exchange_kernelILj256ELj1ELj32E18ScatterToStripedOpiEvPT3_j,comdat
	.protected	_Z20warp_exchange_kernelILj256ELj1ELj32E18ScatterToStripedOpiEvPT3_j ; -- Begin function _Z20warp_exchange_kernelILj256ELj1ELj32E18ScatterToStripedOpiEvPT3_j
	.globl	_Z20warp_exchange_kernelILj256ELj1ELj32E18ScatterToStripedOpiEvPT3_j
	.p2align	8
	.type	_Z20warp_exchange_kernelILj256ELj1ELj32E18ScatterToStripedOpiEvPT3_j,@function
_Z20warp_exchange_kernelILj256ELj1ELj32E18ScatterToStripedOpiEvPT3_j: ; @_Z20warp_exchange_kernelILj256ELj1ELj32E18ScatterToStripedOpiEvPT3_j
; %bb.0:
	s_load_dword s0, s[4:5], 0x8
	s_waitcnt lgkmcnt(0)
	s_cmp_eq_u32 s0, 0
	s_cbranch_scc1 .LBB29_3
; %bb.1:
	v_lshlrev_b32_e32 v2, 2, v0
	v_and_b32_e32 v3, 0x380, v2
	v_mbcnt_lo_u32_b32 v2, -1, 0
	v_not_b32_e32 v1, v0
	v_mbcnt_hi_u32_b32 v2, -1, v2
	v_and_b32_e32 v1, 31, v1
	v_and_b32_e32 v4, 31, v2
	v_lshl_or_b32 v2, v1, 2, v3
	v_lshl_or_b32 v3, v4, 2, v3
	v_mov_b32_e32 v1, v0
.LBB29_2:                               ; =>This Inner Loop Header: Depth=1
	s_waitcnt lgkmcnt(0)
	ds_write_b32 v2, v1
	; wave barrier
	ds_read_b32 v1, v3
	s_add_i32 s0, s0, -1
	s_cmp_lg_u32 s0, 0
	; wave barrier
	s_cbranch_scc1 .LBB29_2
	s_branch .LBB29_4
.LBB29_3:
	v_mov_b32_e32 v1, v0
.LBB29_4:
	s_load_dwordx2 s[0:1], s[4:5], 0x0
	v_lshl_or_b32 v2, s6, 8, v0
	v_mov_b32_e32 v3, 0
	v_lshlrev_b64 v[2:3], 2, v[2:3]
	s_waitcnt lgkmcnt(0)
	v_mov_b32_e32 v0, s1
	v_add_co_u32_e32 v2, vcc, s0, v2
	v_addc_co_u32_e32 v3, vcc, v0, v3, vcc
	global_store_dword v[2:3], v1, off
	s_endpgm
	.section	.rodata,"a",@progbits
	.p2align	6, 0x0
	.amdhsa_kernel _Z20warp_exchange_kernelILj256ELj1ELj32E18ScatterToStripedOpiEvPT3_j
		.amdhsa_group_segment_fixed_size 1024
		.amdhsa_private_segment_fixed_size 0
		.amdhsa_kernarg_size 12
		.amdhsa_user_sgpr_count 6
		.amdhsa_user_sgpr_private_segment_buffer 1
		.amdhsa_user_sgpr_dispatch_ptr 0
		.amdhsa_user_sgpr_queue_ptr 0
		.amdhsa_user_sgpr_kernarg_segment_ptr 1
		.amdhsa_user_sgpr_dispatch_id 0
		.amdhsa_user_sgpr_flat_scratch_init 0
		.amdhsa_user_sgpr_kernarg_preload_length 0
		.amdhsa_user_sgpr_kernarg_preload_offset 0
		.amdhsa_user_sgpr_private_segment_size 0
		.amdhsa_uses_dynamic_stack 0
		.amdhsa_system_sgpr_private_segment_wavefront_offset 0
		.amdhsa_system_sgpr_workgroup_id_x 1
		.amdhsa_system_sgpr_workgroup_id_y 0
		.amdhsa_system_sgpr_workgroup_id_z 0
		.amdhsa_system_sgpr_workgroup_info 0
		.amdhsa_system_vgpr_workitem_id 0
		.amdhsa_next_free_vgpr 5
		.amdhsa_next_free_sgpr 7
		.amdhsa_accum_offset 8
		.amdhsa_reserve_vcc 1
		.amdhsa_reserve_flat_scratch 0
		.amdhsa_float_round_mode_32 0
		.amdhsa_float_round_mode_16_64 0
		.amdhsa_float_denorm_mode_32 3
		.amdhsa_float_denorm_mode_16_64 3
		.amdhsa_dx10_clamp 1
		.amdhsa_ieee_mode 1
		.amdhsa_fp16_overflow 0
		.amdhsa_tg_split 0
		.amdhsa_exception_fp_ieee_invalid_op 0
		.amdhsa_exception_fp_denorm_src 0
		.amdhsa_exception_fp_ieee_div_zero 0
		.amdhsa_exception_fp_ieee_overflow 0
		.amdhsa_exception_fp_ieee_underflow 0
		.amdhsa_exception_fp_ieee_inexact 0
		.amdhsa_exception_int_div_zero 0
	.end_amdhsa_kernel
	.section	.text._Z20warp_exchange_kernelILj256ELj1ELj32E18ScatterToStripedOpiEvPT3_j,"axG",@progbits,_Z20warp_exchange_kernelILj256ELj1ELj32E18ScatterToStripedOpiEvPT3_j,comdat
.Lfunc_end29:
	.size	_Z20warp_exchange_kernelILj256ELj1ELj32E18ScatterToStripedOpiEvPT3_j, .Lfunc_end29-_Z20warp_exchange_kernelILj256ELj1ELj32E18ScatterToStripedOpiEvPT3_j
                                        ; -- End function
	.section	.AMDGPU.csdata,"",@progbits
; Kernel info:
; codeLenInByte = 176
; NumSgprs: 11
; NumVgprs: 5
; NumAgprs: 0
; TotalNumVgprs: 5
; ScratchSize: 0
; MemoryBound: 0
; FloatMode: 240
; IeeeMode: 1
; LDSByteSize: 1024 bytes/workgroup (compile time only)
; SGPRBlocks: 1
; VGPRBlocks: 0
; NumSGPRsForWavesPerEU: 11
; NumVGPRsForWavesPerEU: 5
; AccumOffset: 8
; Occupancy: 8
; WaveLimiterHint : 0
; COMPUTE_PGM_RSRC2:SCRATCH_EN: 0
; COMPUTE_PGM_RSRC2:USER_SGPR: 6
; COMPUTE_PGM_RSRC2:TRAP_HANDLER: 0
; COMPUTE_PGM_RSRC2:TGID_X_EN: 1
; COMPUTE_PGM_RSRC2:TGID_Y_EN: 0
; COMPUTE_PGM_RSRC2:TGID_Z_EN: 0
; COMPUTE_PGM_RSRC2:TIDIG_COMP_CNT: 0
; COMPUTE_PGM_RSRC3_GFX90A:ACCUM_OFFSET: 1
; COMPUTE_PGM_RSRC3_GFX90A:TG_SPLIT: 0
	.section	.text._Z20warp_exchange_kernelILj256ELj4ELj16E18ScatterToStripedOpiEvPT3_j,"axG",@progbits,_Z20warp_exchange_kernelILj256ELj4ELj16E18ScatterToStripedOpiEvPT3_j,comdat
	.protected	_Z20warp_exchange_kernelILj256ELj4ELj16E18ScatterToStripedOpiEvPT3_j ; -- Begin function _Z20warp_exchange_kernelILj256ELj4ELj16E18ScatterToStripedOpiEvPT3_j
	.globl	_Z20warp_exchange_kernelILj256ELj4ELj16E18ScatterToStripedOpiEvPT3_j
	.p2align	8
	.type	_Z20warp_exchange_kernelILj256ELj4ELj16E18ScatterToStripedOpiEvPT3_j,@function
_Z20warp_exchange_kernelILj256ELj4ELj16E18ScatterToStripedOpiEvPT3_j: ; @_Z20warp_exchange_kernelILj256ELj4ELj16E18ScatterToStripedOpiEvPT3_j
; %bb.0:
	s_load_dword s0, s[4:5], 0x8
	v_lshlrev_b32_e32 v4, 2, v0
	v_or_b32_e32 v1, 1, v4
	v_or_b32_e32 v6, 2, v4
	;; [unrolled: 1-line block ×3, first 2 shown]
	s_waitcnt lgkmcnt(0)
	s_cmp_eq_u32 s0, 0
	s_cbranch_scc1 .LBB30_4
; %bb.1:
	v_mbcnt_lo_u32_b32 v5, -1, 0
	v_and_b32_e32 v3, 60, v4
	v_lshlrev_b32_e32 v0, 4, v0
	v_mbcnt_hi_u32_b32 v5, -1, v5
	v_xor_b32_e32 v2, 60, v3
	v_and_b32_e32 v0, 0xf00, v0
	v_and_b32_e32 v5, 15, v5
	v_lshl_or_b32 v2, v2, 2, v0
	v_lshl_or_b32 v3, v3, 2, v0
	;; [unrolled: 1-line block ×3, first 2 shown]
	v_mov_b32_e32 v0, v4
.LBB30_2:                               ; =>This Inner Loop Header: Depth=1
	s_waitcnt lgkmcnt(1)
	ds_write_b32 v2, v0
	ds_write_b32 v3, v1 offset:4
	s_waitcnt lgkmcnt(2)
	ds_write_b32 v2, v6 offset:8
	ds_write_b32 v3, v7 offset:12
	; wave barrier
	ds_read2_b32 v[0:1], v5 offset1:16
	ds_read2_b32 v[6:7], v5 offset0:32 offset1:48
	s_add_i32 s0, s0, -1
	s_cmp_lg_u32 s0, 0
	; wave barrier
	s_cbranch_scc1 .LBB30_2
; %bb.3:
	s_waitcnt lgkmcnt(0)
	v_mov_b32_e32 v2, v6
	v_mov_b32_e32 v3, v7
	s_branch .LBB30_5
.LBB30_4:
	v_mov_b32_e32 v5, v1
	v_pk_mov_b32 v[0:1], v[4:5], v[4:5] op_sel:[0,1]
	v_pk_mov_b32 v[2:3], v[6:7], v[6:7] op_sel:[0,1]
.LBB30_5:
	s_load_dwordx2 s[0:1], s[4:5], 0x0
	v_lshl_or_b32 v4, s6, 10, v4
	v_mov_b32_e32 v5, 0
	v_lshlrev_b64 v[4:5], 2, v[4:5]
	s_waitcnt lgkmcnt(0)
	v_mov_b32_e32 v6, s1
	v_add_co_u32_e32 v4, vcc, s0, v4
	v_addc_co_u32_e32 v5, vcc, v6, v5, vcc
	global_store_dwordx4 v[4:5], v[0:3], off
	s_endpgm
	.section	.rodata,"a",@progbits
	.p2align	6, 0x0
	.amdhsa_kernel _Z20warp_exchange_kernelILj256ELj4ELj16E18ScatterToStripedOpiEvPT3_j
		.amdhsa_group_segment_fixed_size 4096
		.amdhsa_private_segment_fixed_size 0
		.amdhsa_kernarg_size 12
		.amdhsa_user_sgpr_count 6
		.amdhsa_user_sgpr_private_segment_buffer 1
		.amdhsa_user_sgpr_dispatch_ptr 0
		.amdhsa_user_sgpr_queue_ptr 0
		.amdhsa_user_sgpr_kernarg_segment_ptr 1
		.amdhsa_user_sgpr_dispatch_id 0
		.amdhsa_user_sgpr_flat_scratch_init 0
		.amdhsa_user_sgpr_kernarg_preload_length 0
		.amdhsa_user_sgpr_kernarg_preload_offset 0
		.amdhsa_user_sgpr_private_segment_size 0
		.amdhsa_uses_dynamic_stack 0
		.amdhsa_system_sgpr_private_segment_wavefront_offset 0
		.amdhsa_system_sgpr_workgroup_id_x 1
		.amdhsa_system_sgpr_workgroup_id_y 0
		.amdhsa_system_sgpr_workgroup_id_z 0
		.amdhsa_system_sgpr_workgroup_info 0
		.amdhsa_system_vgpr_workitem_id 0
		.amdhsa_next_free_vgpr 8
		.amdhsa_next_free_sgpr 7
		.amdhsa_accum_offset 8
		.amdhsa_reserve_vcc 1
		.amdhsa_reserve_flat_scratch 0
		.amdhsa_float_round_mode_32 0
		.amdhsa_float_round_mode_16_64 0
		.amdhsa_float_denorm_mode_32 3
		.amdhsa_float_denorm_mode_16_64 3
		.amdhsa_dx10_clamp 1
		.amdhsa_ieee_mode 1
		.amdhsa_fp16_overflow 0
		.amdhsa_tg_split 0
		.amdhsa_exception_fp_ieee_invalid_op 0
		.amdhsa_exception_fp_denorm_src 0
		.amdhsa_exception_fp_ieee_div_zero 0
		.amdhsa_exception_fp_ieee_overflow 0
		.amdhsa_exception_fp_ieee_underflow 0
		.amdhsa_exception_fp_ieee_inexact 0
		.amdhsa_exception_int_div_zero 0
	.end_amdhsa_kernel
	.section	.text._Z20warp_exchange_kernelILj256ELj4ELj16E18ScatterToStripedOpiEvPT3_j,"axG",@progbits,_Z20warp_exchange_kernelILj256ELj4ELj16E18ScatterToStripedOpiEvPT3_j,comdat
.Lfunc_end30:
	.size	_Z20warp_exchange_kernelILj256ELj4ELj16E18ScatterToStripedOpiEvPT3_j, .Lfunc_end30-_Z20warp_exchange_kernelILj256ELj4ELj16E18ScatterToStripedOpiEvPT3_j
                                        ; -- End function
	.section	.AMDGPU.csdata,"",@progbits
; Kernel info:
; codeLenInByte = 264
; NumSgprs: 11
; NumVgprs: 8
; NumAgprs: 0
; TotalNumVgprs: 8
; ScratchSize: 0
; MemoryBound: 0
; FloatMode: 240
; IeeeMode: 1
; LDSByteSize: 4096 bytes/workgroup (compile time only)
; SGPRBlocks: 1
; VGPRBlocks: 0
; NumSGPRsForWavesPerEU: 11
; NumVGPRsForWavesPerEU: 8
; AccumOffset: 8
; Occupancy: 8
; WaveLimiterHint : 0
; COMPUTE_PGM_RSRC2:SCRATCH_EN: 0
; COMPUTE_PGM_RSRC2:USER_SGPR: 6
; COMPUTE_PGM_RSRC2:TRAP_HANDLER: 0
; COMPUTE_PGM_RSRC2:TGID_X_EN: 1
; COMPUTE_PGM_RSRC2:TGID_Y_EN: 0
; COMPUTE_PGM_RSRC2:TGID_Z_EN: 0
; COMPUTE_PGM_RSRC2:TIDIG_COMP_CNT: 0
; COMPUTE_PGM_RSRC3_GFX90A:ACCUM_OFFSET: 1
; COMPUTE_PGM_RSRC3_GFX90A:TG_SPLIT: 0
	.section	.text._Z20warp_exchange_kernelILj256ELj4ELj32E18ScatterToStripedOpiEvPT3_j,"axG",@progbits,_Z20warp_exchange_kernelILj256ELj4ELj32E18ScatterToStripedOpiEvPT3_j,comdat
	.protected	_Z20warp_exchange_kernelILj256ELj4ELj32E18ScatterToStripedOpiEvPT3_j ; -- Begin function _Z20warp_exchange_kernelILj256ELj4ELj32E18ScatterToStripedOpiEvPT3_j
	.globl	_Z20warp_exchange_kernelILj256ELj4ELj32E18ScatterToStripedOpiEvPT3_j
	.p2align	8
	.type	_Z20warp_exchange_kernelILj256ELj4ELj32E18ScatterToStripedOpiEvPT3_j,@function
_Z20warp_exchange_kernelILj256ELj4ELj32E18ScatterToStripedOpiEvPT3_j: ; @_Z20warp_exchange_kernelILj256ELj4ELj32E18ScatterToStripedOpiEvPT3_j
; %bb.0:
	s_load_dword s0, s[4:5], 0x8
	v_lshlrev_b32_e32 v4, 2, v0
	v_or_b32_e32 v1, 1, v4
	v_or_b32_e32 v6, 2, v4
	;; [unrolled: 1-line block ×3, first 2 shown]
	s_waitcnt lgkmcnt(0)
	s_cmp_eq_u32 s0, 0
	s_cbranch_scc1 .LBB31_4
; %bb.1:
	v_mbcnt_lo_u32_b32 v5, -1, 0
	v_and_b32_e32 v3, 0x7c, v4
	v_lshlrev_b32_e32 v0, 4, v0
	v_mbcnt_hi_u32_b32 v5, -1, v5
	v_xor_b32_e32 v2, 0x7c, v3
	v_and_b32_e32 v0, 0xe00, v0
	v_and_b32_e32 v5, 31, v5
	v_lshl_or_b32 v2, v2, 2, v0
	v_lshl_or_b32 v3, v3, 2, v0
	;; [unrolled: 1-line block ×3, first 2 shown]
	v_mov_b32_e32 v0, v4
.LBB31_2:                               ; =>This Inner Loop Header: Depth=1
	s_waitcnt lgkmcnt(1)
	ds_write_b32 v2, v0
	ds_write_b32 v3, v1 offset:4
	s_waitcnt lgkmcnt(2)
	ds_write_b32 v2, v6 offset:8
	ds_write_b32 v3, v7 offset:12
	; wave barrier
	ds_read2_b32 v[0:1], v5 offset1:32
	ds_read2_b32 v[6:7], v5 offset0:64 offset1:96
	s_add_i32 s0, s0, -1
	s_cmp_lg_u32 s0, 0
	; wave barrier
	s_cbranch_scc1 .LBB31_2
; %bb.3:
	s_waitcnt lgkmcnt(0)
	v_mov_b32_e32 v2, v6
	v_mov_b32_e32 v3, v7
	s_branch .LBB31_5
.LBB31_4:
	v_mov_b32_e32 v5, v1
	v_pk_mov_b32 v[0:1], v[4:5], v[4:5] op_sel:[0,1]
	v_pk_mov_b32 v[2:3], v[6:7], v[6:7] op_sel:[0,1]
.LBB31_5:
	s_load_dwordx2 s[0:1], s[4:5], 0x0
	v_lshl_or_b32 v4, s6, 10, v4
	v_mov_b32_e32 v5, 0
	v_lshlrev_b64 v[4:5], 2, v[4:5]
	s_waitcnt lgkmcnt(0)
	v_mov_b32_e32 v6, s1
	v_add_co_u32_e32 v4, vcc, s0, v4
	v_addc_co_u32_e32 v5, vcc, v6, v5, vcc
	global_store_dwordx4 v[4:5], v[0:3], off
	s_endpgm
	.section	.rodata,"a",@progbits
	.p2align	6, 0x0
	.amdhsa_kernel _Z20warp_exchange_kernelILj256ELj4ELj32E18ScatterToStripedOpiEvPT3_j
		.amdhsa_group_segment_fixed_size 4096
		.amdhsa_private_segment_fixed_size 0
		.amdhsa_kernarg_size 12
		.amdhsa_user_sgpr_count 6
		.amdhsa_user_sgpr_private_segment_buffer 1
		.amdhsa_user_sgpr_dispatch_ptr 0
		.amdhsa_user_sgpr_queue_ptr 0
		.amdhsa_user_sgpr_kernarg_segment_ptr 1
		.amdhsa_user_sgpr_dispatch_id 0
		.amdhsa_user_sgpr_flat_scratch_init 0
		.amdhsa_user_sgpr_kernarg_preload_length 0
		.amdhsa_user_sgpr_kernarg_preload_offset 0
		.amdhsa_user_sgpr_private_segment_size 0
		.amdhsa_uses_dynamic_stack 0
		.amdhsa_system_sgpr_private_segment_wavefront_offset 0
		.amdhsa_system_sgpr_workgroup_id_x 1
		.amdhsa_system_sgpr_workgroup_id_y 0
		.amdhsa_system_sgpr_workgroup_id_z 0
		.amdhsa_system_sgpr_workgroup_info 0
		.amdhsa_system_vgpr_workitem_id 0
		.amdhsa_next_free_vgpr 8
		.amdhsa_next_free_sgpr 7
		.amdhsa_accum_offset 8
		.amdhsa_reserve_vcc 1
		.amdhsa_reserve_flat_scratch 0
		.amdhsa_float_round_mode_32 0
		.amdhsa_float_round_mode_16_64 0
		.amdhsa_float_denorm_mode_32 3
		.amdhsa_float_denorm_mode_16_64 3
		.amdhsa_dx10_clamp 1
		.amdhsa_ieee_mode 1
		.amdhsa_fp16_overflow 0
		.amdhsa_tg_split 0
		.amdhsa_exception_fp_ieee_invalid_op 0
		.amdhsa_exception_fp_denorm_src 0
		.amdhsa_exception_fp_ieee_div_zero 0
		.amdhsa_exception_fp_ieee_overflow 0
		.amdhsa_exception_fp_ieee_underflow 0
		.amdhsa_exception_fp_ieee_inexact 0
		.amdhsa_exception_int_div_zero 0
	.end_amdhsa_kernel
	.section	.text._Z20warp_exchange_kernelILj256ELj4ELj32E18ScatterToStripedOpiEvPT3_j,"axG",@progbits,_Z20warp_exchange_kernelILj256ELj4ELj32E18ScatterToStripedOpiEvPT3_j,comdat
.Lfunc_end31:
	.size	_Z20warp_exchange_kernelILj256ELj4ELj32E18ScatterToStripedOpiEvPT3_j, .Lfunc_end31-_Z20warp_exchange_kernelILj256ELj4ELj32E18ScatterToStripedOpiEvPT3_j
                                        ; -- End function
	.section	.AMDGPU.csdata,"",@progbits
; Kernel info:
; codeLenInByte = 272
; NumSgprs: 11
; NumVgprs: 8
; NumAgprs: 0
; TotalNumVgprs: 8
; ScratchSize: 0
; MemoryBound: 0
; FloatMode: 240
; IeeeMode: 1
; LDSByteSize: 4096 bytes/workgroup (compile time only)
; SGPRBlocks: 1
; VGPRBlocks: 0
; NumSGPRsForWavesPerEU: 11
; NumVGPRsForWavesPerEU: 8
; AccumOffset: 8
; Occupancy: 8
; WaveLimiterHint : 0
; COMPUTE_PGM_RSRC2:SCRATCH_EN: 0
; COMPUTE_PGM_RSRC2:USER_SGPR: 6
; COMPUTE_PGM_RSRC2:TRAP_HANDLER: 0
; COMPUTE_PGM_RSRC2:TGID_X_EN: 1
; COMPUTE_PGM_RSRC2:TGID_Y_EN: 0
; COMPUTE_PGM_RSRC2:TGID_Z_EN: 0
; COMPUTE_PGM_RSRC2:TIDIG_COMP_CNT: 0
; COMPUTE_PGM_RSRC3_GFX90A:ACCUM_OFFSET: 1
; COMPUTE_PGM_RSRC3_GFX90A:TG_SPLIT: 0
	.section	.text._Z20warp_exchange_kernelILj256ELj16ELj16E18ScatterToStripedOpiEvPT3_j,"axG",@progbits,_Z20warp_exchange_kernelILj256ELj16ELj16E18ScatterToStripedOpiEvPT3_j,comdat
	.protected	_Z20warp_exchange_kernelILj256ELj16ELj16E18ScatterToStripedOpiEvPT3_j ; -- Begin function _Z20warp_exchange_kernelILj256ELj16ELj16E18ScatterToStripedOpiEvPT3_j
	.globl	_Z20warp_exchange_kernelILj256ELj16ELj16E18ScatterToStripedOpiEvPT3_j
	.p2align	8
	.type	_Z20warp_exchange_kernelILj256ELj16ELj16E18ScatterToStripedOpiEvPT3_j,@function
_Z20warp_exchange_kernelILj256ELj16ELj16E18ScatterToStripedOpiEvPT3_j: ; @_Z20warp_exchange_kernelILj256ELj16ELj16E18ScatterToStripedOpiEvPT3_j
; %bb.0:
	s_load_dword s0, s[4:5], 0x8
	v_lshlrev_b32_e32 v16, 4, v0
	v_or_b32_e32 v17, 1, v16
	v_or_b32_e32 v18, 2, v16
	;; [unrolled: 1-line block ×14, first 2 shown]
	s_waitcnt lgkmcnt(0)
	s_cmp_lg_u32 s0, 0
	v_or_b32_e32 v31, 15, v16
	s_cbranch_scc0 .LBB32_6
; %bb.1:
	v_mbcnt_lo_u32_b32 v3, -1, 0
	v_and_b32_e32 v1, 0xf0, v16
	v_lshlrev_b32_e32 v0, 6, v0
	v_mbcnt_hi_u32_b32 v3, -1, v3
	v_xor_b32_e32 v2, 0xf0, v1
	v_and_b32_e32 v0, 0x3c00, v0
	v_and_b32_e32 v3, 15, v3
	v_lshl_or_b32 v32, v3, 2, v0
	v_lshl_or_b32 v33, v2, 2, v0
	;; [unrolled: 1-line block ×3, first 2 shown]
	v_mov_b32_e32 v8, v16
	v_mov_b32_e32 v9, v17
	;; [unrolled: 1-line block ×16, first 2 shown]
.LBB32_2:                               ; =>This Inner Loop Header: Depth=1
	s_waitcnt lgkmcnt(7)
	ds_write_b32 v33, v8
	ds_write_b32 v34, v9 offset:4
	s_waitcnt lgkmcnt(8)
	ds_write_b32 v33, v10 offset:8
	ds_write_b32 v34, v11 offset:12
	s_waitcnt lgkmcnt(9)
	ds_write_b32 v33, v12 offset:16
	;; [unrolled: 3-line block ×7, first 2 shown]
	ds_write_b32 v34, v3 offset:60
	; wave barrier
	ds_read2_b32 v[8:9], v32 offset1:16
	ds_read2_b32 v[10:11], v32 offset0:32 offset1:48
	ds_read2_b32 v[12:13], v32 offset0:64 offset1:80
	;; [unrolled: 1-line block ×7, first 2 shown]
	s_add_i32 s0, s0, -1
	s_cmp_lg_u32 s0, 0
	; wave barrier
	s_cbranch_scc1 .LBB32_2
; %bb.3:
	s_branch .LBB32_5
.LBB32_4:
	s_waitcnt lgkmcnt(6)
	v_pk_mov_b32 v[10:11], v[18:19], v[18:19] op_sel:[0,1]
	s_waitcnt lgkmcnt(5)
	v_pk_mov_b32 v[12:13], v[20:21], v[20:21] op_sel:[0,1]
	;; [unrolled: 2-line block ×7, first 2 shown]
	v_pk_mov_b32 v[8:9], v[16:17], v[16:17] op_sel:[0,1]
.LBB32_5:
	s_load_dwordx2 s[0:1], s[4:5], 0x0
	v_lshl_or_b32 v16, s6, 12, v16
	v_mov_b32_e32 v17, 0
	v_lshlrev_b64 v[16:17], 2, v[16:17]
	s_waitcnt lgkmcnt(0)
	v_mov_b32_e32 v18, s1
	v_add_co_u32_e32 v16, vcc, s0, v16
	v_addc_co_u32_e32 v17, vcc, v18, v17, vcc
	global_store_dwordx4 v[16:17], v[8:11], off
	global_store_dwordx4 v[16:17], v[12:15], off offset:16
	global_store_dwordx4 v[16:17], v[4:7], off offset:32
	;; [unrolled: 1-line block ×3, first 2 shown]
	s_endpgm
.LBB32_6:
                                        ; implicit-def: $vgpr8_vgpr9
                                        ; implicit-def: $vgpr2_vgpr3
                                        ; implicit-def: $vgpr6_vgpr7
                                        ; implicit-def: $vgpr14_vgpr15
	s_cbranch_execnz .LBB32_4
	s_branch .LBB32_5
	.section	.rodata,"a",@progbits
	.p2align	6, 0x0
	.amdhsa_kernel _Z20warp_exchange_kernelILj256ELj16ELj16E18ScatterToStripedOpiEvPT3_j
		.amdhsa_group_segment_fixed_size 16384
		.amdhsa_private_segment_fixed_size 0
		.amdhsa_kernarg_size 12
		.amdhsa_user_sgpr_count 6
		.amdhsa_user_sgpr_private_segment_buffer 1
		.amdhsa_user_sgpr_dispatch_ptr 0
		.amdhsa_user_sgpr_queue_ptr 0
		.amdhsa_user_sgpr_kernarg_segment_ptr 1
		.amdhsa_user_sgpr_dispatch_id 0
		.amdhsa_user_sgpr_flat_scratch_init 0
		.amdhsa_user_sgpr_kernarg_preload_length 0
		.amdhsa_user_sgpr_kernarg_preload_offset 0
		.amdhsa_user_sgpr_private_segment_size 0
		.amdhsa_uses_dynamic_stack 0
		.amdhsa_system_sgpr_private_segment_wavefront_offset 0
		.amdhsa_system_sgpr_workgroup_id_x 1
		.amdhsa_system_sgpr_workgroup_id_y 0
		.amdhsa_system_sgpr_workgroup_id_z 0
		.amdhsa_system_sgpr_workgroup_info 0
		.amdhsa_system_vgpr_workitem_id 0
		.amdhsa_next_free_vgpr 35
		.amdhsa_next_free_sgpr 7
		.amdhsa_accum_offset 36
		.amdhsa_reserve_vcc 1
		.amdhsa_reserve_flat_scratch 0
		.amdhsa_float_round_mode_32 0
		.amdhsa_float_round_mode_16_64 0
		.amdhsa_float_denorm_mode_32 3
		.amdhsa_float_denorm_mode_16_64 3
		.amdhsa_dx10_clamp 1
		.amdhsa_ieee_mode 1
		.amdhsa_fp16_overflow 0
		.amdhsa_tg_split 0
		.amdhsa_exception_fp_ieee_invalid_op 0
		.amdhsa_exception_fp_denorm_src 0
		.amdhsa_exception_fp_ieee_div_zero 0
		.amdhsa_exception_fp_ieee_overflow 0
		.amdhsa_exception_fp_ieee_underflow 0
		.amdhsa_exception_fp_ieee_inexact 0
		.amdhsa_exception_int_div_zero 0
	.end_amdhsa_kernel
	.section	.text._Z20warp_exchange_kernelILj256ELj16ELj16E18ScatterToStripedOpiEvPT3_j,"axG",@progbits,_Z20warp_exchange_kernelILj256ELj16ELj16E18ScatterToStripedOpiEvPT3_j,comdat
.Lfunc_end32:
	.size	_Z20warp_exchange_kernelILj256ELj16ELj16E18ScatterToStripedOpiEvPT3_j, .Lfunc_end32-_Z20warp_exchange_kernelILj256ELj16ELj16E18ScatterToStripedOpiEvPT3_j
                                        ; -- End function
	.section	.AMDGPU.csdata,"",@progbits
; Kernel info:
; codeLenInByte = 640
; NumSgprs: 11
; NumVgprs: 35
; NumAgprs: 0
; TotalNumVgprs: 35
; ScratchSize: 0
; MemoryBound: 0
; FloatMode: 240
; IeeeMode: 1
; LDSByteSize: 16384 bytes/workgroup (compile time only)
; SGPRBlocks: 1
; VGPRBlocks: 4
; NumSGPRsForWavesPerEU: 11
; NumVGPRsForWavesPerEU: 35
; AccumOffset: 36
; Occupancy: 4
; WaveLimiterHint : 0
; COMPUTE_PGM_RSRC2:SCRATCH_EN: 0
; COMPUTE_PGM_RSRC2:USER_SGPR: 6
; COMPUTE_PGM_RSRC2:TRAP_HANDLER: 0
; COMPUTE_PGM_RSRC2:TGID_X_EN: 1
; COMPUTE_PGM_RSRC2:TGID_Y_EN: 0
; COMPUTE_PGM_RSRC2:TGID_Z_EN: 0
; COMPUTE_PGM_RSRC2:TIDIG_COMP_CNT: 0
; COMPUTE_PGM_RSRC3_GFX90A:ACCUM_OFFSET: 8
; COMPUTE_PGM_RSRC3_GFX90A:TG_SPLIT: 0
	.section	.text._Z20warp_exchange_kernelILj256ELj16ELj32E18ScatterToStripedOpiEvPT3_j,"axG",@progbits,_Z20warp_exchange_kernelILj256ELj16ELj32E18ScatterToStripedOpiEvPT3_j,comdat
	.protected	_Z20warp_exchange_kernelILj256ELj16ELj32E18ScatterToStripedOpiEvPT3_j ; -- Begin function _Z20warp_exchange_kernelILj256ELj16ELj32E18ScatterToStripedOpiEvPT3_j
	.globl	_Z20warp_exchange_kernelILj256ELj16ELj32E18ScatterToStripedOpiEvPT3_j
	.p2align	8
	.type	_Z20warp_exchange_kernelILj256ELj16ELj32E18ScatterToStripedOpiEvPT3_j,@function
_Z20warp_exchange_kernelILj256ELj16ELj32E18ScatterToStripedOpiEvPT3_j: ; @_Z20warp_exchange_kernelILj256ELj16ELj32E18ScatterToStripedOpiEvPT3_j
; %bb.0:
	s_load_dword s0, s[4:5], 0x8
	v_lshlrev_b32_e32 v16, 4, v0
	v_or_b32_e32 v17, 1, v16
	v_or_b32_e32 v18, 2, v16
	;; [unrolled: 1-line block ×14, first 2 shown]
	s_waitcnt lgkmcnt(0)
	s_cmp_lg_u32 s0, 0
	v_or_b32_e32 v31, 15, v16
	s_cbranch_scc0 .LBB33_6
; %bb.1:
	v_mbcnt_lo_u32_b32 v3, -1, 0
	v_lshlrev_b32_e32 v0, 6, v0
	v_mbcnt_hi_u32_b32 v3, -1, v3
	v_and_b32_e32 v1, 0x1f0, v16
	v_and_b32_e32 v0, 0x3800, v0
	;; [unrolled: 1-line block ×3, first 2 shown]
	v_xor_b32_e32 v2, 0x1f0, v1
	v_lshl_or_b32 v32, v3, 2, v0
	v_lshl_or_b32 v33, v2, 2, v0
	;; [unrolled: 1-line block ×3, first 2 shown]
	v_add_u32_e32 v35, 0x400, v32
	v_mov_b32_e32 v8, v16
	v_mov_b32_e32 v9, v17
	;; [unrolled: 1-line block ×16, first 2 shown]
.LBB33_2:                               ; =>This Inner Loop Header: Depth=1
	s_waitcnt lgkmcnt(7)
	ds_write_b32 v33, v8
	ds_write_b32 v34, v9 offset:4
	s_waitcnt lgkmcnt(8)
	ds_write_b32 v33, v10 offset:8
	ds_write_b32 v34, v11 offset:12
	s_waitcnt lgkmcnt(9)
	ds_write_b32 v33, v12 offset:16
	;; [unrolled: 3-line block ×7, first 2 shown]
	ds_write_b32 v34, v3 offset:60
	; wave barrier
	ds_read2_b32 v[8:9], v32 offset1:32
	ds_read2_b32 v[10:11], v32 offset0:64 offset1:96
	ds_read2_b32 v[12:13], v32 offset0:128 offset1:160
	;; [unrolled: 1-line block ×3, first 2 shown]
	ds_read2_b32 v[4:5], v35 offset1:32
	ds_read2_b32 v[6:7], v35 offset0:64 offset1:96
	ds_read2_b32 v[0:1], v35 offset0:128 offset1:160
	;; [unrolled: 1-line block ×3, first 2 shown]
	s_add_i32 s0, s0, -1
	s_cmp_lg_u32 s0, 0
	; wave barrier
	s_cbranch_scc1 .LBB33_2
; %bb.3:
	s_branch .LBB33_5
.LBB33_4:
	s_waitcnt lgkmcnt(6)
	v_pk_mov_b32 v[10:11], v[18:19], v[18:19] op_sel:[0,1]
	s_waitcnt lgkmcnt(5)
	v_pk_mov_b32 v[12:13], v[20:21], v[20:21] op_sel:[0,1]
	;; [unrolled: 2-line block ×7, first 2 shown]
	v_pk_mov_b32 v[8:9], v[16:17], v[16:17] op_sel:[0,1]
.LBB33_5:
	s_load_dwordx2 s[0:1], s[4:5], 0x0
	v_lshl_or_b32 v16, s6, 12, v16
	v_mov_b32_e32 v17, 0
	v_lshlrev_b64 v[16:17], 2, v[16:17]
	s_waitcnt lgkmcnt(0)
	v_mov_b32_e32 v18, s1
	v_add_co_u32_e32 v16, vcc, s0, v16
	v_addc_co_u32_e32 v17, vcc, v18, v17, vcc
	global_store_dwordx4 v[16:17], v[8:11], off
	global_store_dwordx4 v[16:17], v[12:15], off offset:16
	global_store_dwordx4 v[16:17], v[4:7], off offset:32
	;; [unrolled: 1-line block ×3, first 2 shown]
	s_endpgm
.LBB33_6:
                                        ; implicit-def: $vgpr8_vgpr9
                                        ; implicit-def: $vgpr2_vgpr3
                                        ; implicit-def: $vgpr6_vgpr7
                                        ; implicit-def: $vgpr14_vgpr15
	s_cbranch_execnz .LBB33_4
	s_branch .LBB33_5
	.section	.rodata,"a",@progbits
	.p2align	6, 0x0
	.amdhsa_kernel _Z20warp_exchange_kernelILj256ELj16ELj32E18ScatterToStripedOpiEvPT3_j
		.amdhsa_group_segment_fixed_size 16384
		.amdhsa_private_segment_fixed_size 0
		.amdhsa_kernarg_size 12
		.amdhsa_user_sgpr_count 6
		.amdhsa_user_sgpr_private_segment_buffer 1
		.amdhsa_user_sgpr_dispatch_ptr 0
		.amdhsa_user_sgpr_queue_ptr 0
		.amdhsa_user_sgpr_kernarg_segment_ptr 1
		.amdhsa_user_sgpr_dispatch_id 0
		.amdhsa_user_sgpr_flat_scratch_init 0
		.amdhsa_user_sgpr_kernarg_preload_length 0
		.amdhsa_user_sgpr_kernarg_preload_offset 0
		.amdhsa_user_sgpr_private_segment_size 0
		.amdhsa_uses_dynamic_stack 0
		.amdhsa_system_sgpr_private_segment_wavefront_offset 0
		.amdhsa_system_sgpr_workgroup_id_x 1
		.amdhsa_system_sgpr_workgroup_id_y 0
		.amdhsa_system_sgpr_workgroup_id_z 0
		.amdhsa_system_sgpr_workgroup_info 0
		.amdhsa_system_vgpr_workitem_id 0
		.amdhsa_next_free_vgpr 36
		.amdhsa_next_free_sgpr 7
		.amdhsa_accum_offset 36
		.amdhsa_reserve_vcc 1
		.amdhsa_reserve_flat_scratch 0
		.amdhsa_float_round_mode_32 0
		.amdhsa_float_round_mode_16_64 0
		.amdhsa_float_denorm_mode_32 3
		.amdhsa_float_denorm_mode_16_64 3
		.amdhsa_dx10_clamp 1
		.amdhsa_ieee_mode 1
		.amdhsa_fp16_overflow 0
		.amdhsa_tg_split 0
		.amdhsa_exception_fp_ieee_invalid_op 0
		.amdhsa_exception_fp_denorm_src 0
		.amdhsa_exception_fp_ieee_div_zero 0
		.amdhsa_exception_fp_ieee_overflow 0
		.amdhsa_exception_fp_ieee_underflow 0
		.amdhsa_exception_fp_ieee_inexact 0
		.amdhsa_exception_int_div_zero 0
	.end_amdhsa_kernel
	.section	.text._Z20warp_exchange_kernelILj256ELj16ELj32E18ScatterToStripedOpiEvPT3_j,"axG",@progbits,_Z20warp_exchange_kernelILj256ELj16ELj32E18ScatterToStripedOpiEvPT3_j,comdat
.Lfunc_end33:
	.size	_Z20warp_exchange_kernelILj256ELj16ELj32E18ScatterToStripedOpiEvPT3_j, .Lfunc_end33-_Z20warp_exchange_kernelILj256ELj16ELj32E18ScatterToStripedOpiEvPT3_j
                                        ; -- End function
	.section	.AMDGPU.csdata,"",@progbits
; Kernel info:
; codeLenInByte = 648
; NumSgprs: 11
; NumVgprs: 36
; NumAgprs: 0
; TotalNumVgprs: 36
; ScratchSize: 0
; MemoryBound: 0
; FloatMode: 240
; IeeeMode: 1
; LDSByteSize: 16384 bytes/workgroup (compile time only)
; SGPRBlocks: 1
; VGPRBlocks: 4
; NumSGPRsForWavesPerEU: 11
; NumVGPRsForWavesPerEU: 36
; AccumOffset: 36
; Occupancy: 4
; WaveLimiterHint : 0
; COMPUTE_PGM_RSRC2:SCRATCH_EN: 0
; COMPUTE_PGM_RSRC2:USER_SGPR: 6
; COMPUTE_PGM_RSRC2:TRAP_HANDLER: 0
; COMPUTE_PGM_RSRC2:TGID_X_EN: 1
; COMPUTE_PGM_RSRC2:TGID_Y_EN: 0
; COMPUTE_PGM_RSRC2:TGID_Z_EN: 0
; COMPUTE_PGM_RSRC2:TIDIG_COMP_CNT: 0
; COMPUTE_PGM_RSRC3_GFX90A:ACCUM_OFFSET: 8
; COMPUTE_PGM_RSRC3_GFX90A:TG_SPLIT: 0
	.section	.text._Z20warp_exchange_kernelILj256ELj1ELj16EN6common18BlockedToStripedOpEnEvPT3_j,"axG",@progbits,_Z20warp_exchange_kernelILj256ELj1ELj16EN6common18BlockedToStripedOpEnEvPT3_j,comdat
	.protected	_Z20warp_exchange_kernelILj256ELj1ELj16EN6common18BlockedToStripedOpEnEvPT3_j ; -- Begin function _Z20warp_exchange_kernelILj256ELj1ELj16EN6common18BlockedToStripedOpEnEvPT3_j
	.globl	_Z20warp_exchange_kernelILj256ELj1ELj16EN6common18BlockedToStripedOpEnEvPT3_j
	.p2align	8
	.type	_Z20warp_exchange_kernelILj256ELj1ELj16EN6common18BlockedToStripedOpEnEvPT3_j,@function
_Z20warp_exchange_kernelILj256ELj1ELj16EN6common18BlockedToStripedOpEnEvPT3_j: ; @_Z20warp_exchange_kernelILj256ELj1ELj16EN6common18BlockedToStripedOpEnEvPT3_j
; %bb.0:
	s_load_dword s0, s[4:5], 0x8
	v_mov_b32_e32 v1, 0
	v_pk_mov_b32 v[4:5], 0, 0
	s_waitcnt lgkmcnt(0)
	s_cmp_eq_u32 s0, 0
	s_cbranch_scc1 .LBB34_3
; %bb.1:
	v_mbcnt_lo_u32_b32 v3, -1, 0
	v_mbcnt_hi_u32_b32 v3, -1, v3
	v_and_b32_e32 v3, 15, v3
	v_lshlrev_b32_e32 v2, 4, v0
	v_lshlrev_b32_e32 v3, 4, v3
	s_movk_i32 s1, 0xf00
	v_and_or_b32 v6, v2, s1, v3
	v_pk_mov_b32 v[2:3], v[0:1], v[0:1] op_sel:[0,1]
.LBB34_2:                               ; =>This Inner Loop Header: Depth=1
	s_waitcnt lgkmcnt(0)
	ds_write_b128 v6, v[2:5]
	; wave barrier
	ds_read_b128 v[2:5], v6
	s_add_i32 s0, s0, -1
	s_cmp_lg_u32 s0, 0
	; wave barrier
	s_cbranch_scc1 .LBB34_2
	s_branch .LBB34_4
.LBB34_3:
	v_pk_mov_b32 v[2:3], v[0:1], v[0:1] op_sel:[0,1]
.LBB34_4:
	s_load_dwordx2 s[0:1], s[4:5], 0x0
	v_lshl_or_b32 v0, s6, 8, v0
	v_mov_b32_e32 v1, 0
	v_lshlrev_b64 v[0:1], 4, v[0:1]
	s_waitcnt lgkmcnt(0)
	v_mov_b32_e32 v6, s1
	v_add_co_u32_e32 v0, vcc, s0, v0
	v_addc_co_u32_e32 v1, vcc, v6, v1, vcc
	global_store_dwordx4 v[0:1], v[2:5], off
	s_endpgm
	.section	.rodata,"a",@progbits
	.p2align	6, 0x0
	.amdhsa_kernel _Z20warp_exchange_kernelILj256ELj1ELj16EN6common18BlockedToStripedOpEnEvPT3_j
		.amdhsa_group_segment_fixed_size 4096
		.amdhsa_private_segment_fixed_size 0
		.amdhsa_kernarg_size 12
		.amdhsa_user_sgpr_count 6
		.amdhsa_user_sgpr_private_segment_buffer 1
		.amdhsa_user_sgpr_dispatch_ptr 0
		.amdhsa_user_sgpr_queue_ptr 0
		.amdhsa_user_sgpr_kernarg_segment_ptr 1
		.amdhsa_user_sgpr_dispatch_id 0
		.amdhsa_user_sgpr_flat_scratch_init 0
		.amdhsa_user_sgpr_kernarg_preload_length 0
		.amdhsa_user_sgpr_kernarg_preload_offset 0
		.amdhsa_user_sgpr_private_segment_size 0
		.amdhsa_uses_dynamic_stack 0
		.amdhsa_system_sgpr_private_segment_wavefront_offset 0
		.amdhsa_system_sgpr_workgroup_id_x 1
		.amdhsa_system_sgpr_workgroup_id_y 0
		.amdhsa_system_sgpr_workgroup_id_z 0
		.amdhsa_system_sgpr_workgroup_info 0
		.amdhsa_system_vgpr_workitem_id 0
		.amdhsa_next_free_vgpr 7
		.amdhsa_next_free_sgpr 7
		.amdhsa_accum_offset 8
		.amdhsa_reserve_vcc 1
		.amdhsa_reserve_flat_scratch 0
		.amdhsa_float_round_mode_32 0
		.amdhsa_float_round_mode_16_64 0
		.amdhsa_float_denorm_mode_32 3
		.amdhsa_float_denorm_mode_16_64 3
		.amdhsa_dx10_clamp 1
		.amdhsa_ieee_mode 1
		.amdhsa_fp16_overflow 0
		.amdhsa_tg_split 0
		.amdhsa_exception_fp_ieee_invalid_op 0
		.amdhsa_exception_fp_denorm_src 0
		.amdhsa_exception_fp_ieee_div_zero 0
		.amdhsa_exception_fp_ieee_overflow 0
		.amdhsa_exception_fp_ieee_underflow 0
		.amdhsa_exception_fp_ieee_inexact 0
		.amdhsa_exception_int_div_zero 0
	.end_amdhsa_kernel
	.section	.text._Z20warp_exchange_kernelILj256ELj1ELj16EN6common18BlockedToStripedOpEnEvPT3_j,"axG",@progbits,_Z20warp_exchange_kernelILj256ELj1ELj16EN6common18BlockedToStripedOpEnEvPT3_j,comdat
.Lfunc_end34:
	.size	_Z20warp_exchange_kernelILj256ELj1ELj16EN6common18BlockedToStripedOpEnEvPT3_j, .Lfunc_end34-_Z20warp_exchange_kernelILj256ELj1ELj16EN6common18BlockedToStripedOpEnEvPT3_j
                                        ; -- End function
	.section	.AMDGPU.csdata,"",@progbits
; Kernel info:
; codeLenInByte = 180
; NumSgprs: 11
; NumVgprs: 7
; NumAgprs: 0
; TotalNumVgprs: 7
; ScratchSize: 0
; MemoryBound: 0
; FloatMode: 240
; IeeeMode: 1
; LDSByteSize: 4096 bytes/workgroup (compile time only)
; SGPRBlocks: 1
; VGPRBlocks: 0
; NumSGPRsForWavesPerEU: 11
; NumVGPRsForWavesPerEU: 7
; AccumOffset: 8
; Occupancy: 8
; WaveLimiterHint : 0
; COMPUTE_PGM_RSRC2:SCRATCH_EN: 0
; COMPUTE_PGM_RSRC2:USER_SGPR: 6
; COMPUTE_PGM_RSRC2:TRAP_HANDLER: 0
; COMPUTE_PGM_RSRC2:TGID_X_EN: 1
; COMPUTE_PGM_RSRC2:TGID_Y_EN: 0
; COMPUTE_PGM_RSRC2:TGID_Z_EN: 0
; COMPUTE_PGM_RSRC2:TIDIG_COMP_CNT: 0
; COMPUTE_PGM_RSRC3_GFX90A:ACCUM_OFFSET: 1
; COMPUTE_PGM_RSRC3_GFX90A:TG_SPLIT: 0
	.section	.text._Z20warp_exchange_kernelILj256ELj1ELj32EN6common18BlockedToStripedOpEnEvPT3_j,"axG",@progbits,_Z20warp_exchange_kernelILj256ELj1ELj32EN6common18BlockedToStripedOpEnEvPT3_j,comdat
	.protected	_Z20warp_exchange_kernelILj256ELj1ELj32EN6common18BlockedToStripedOpEnEvPT3_j ; -- Begin function _Z20warp_exchange_kernelILj256ELj1ELj32EN6common18BlockedToStripedOpEnEvPT3_j
	.globl	_Z20warp_exchange_kernelILj256ELj1ELj32EN6common18BlockedToStripedOpEnEvPT3_j
	.p2align	8
	.type	_Z20warp_exchange_kernelILj256ELj1ELj32EN6common18BlockedToStripedOpEnEvPT3_j,@function
_Z20warp_exchange_kernelILj256ELj1ELj32EN6common18BlockedToStripedOpEnEvPT3_j: ; @_Z20warp_exchange_kernelILj256ELj1ELj32EN6common18BlockedToStripedOpEnEvPT3_j
; %bb.0:
	s_load_dword s0, s[4:5], 0x8
	v_mov_b32_e32 v1, 0
	v_pk_mov_b32 v[4:5], 0, 0
	s_waitcnt lgkmcnt(0)
	s_cmp_eq_u32 s0, 0
	s_cbranch_scc1 .LBB35_3
; %bb.1:
	v_mbcnt_lo_u32_b32 v3, -1, 0
	v_mbcnt_hi_u32_b32 v3, -1, v3
	v_and_b32_e32 v3, 31, v3
	v_lshlrev_b32_e32 v2, 4, v0
	v_lshlrev_b32_e32 v3, 4, v3
	s_movk_i32 s1, 0xe00
	v_and_or_b32 v6, v2, s1, v3
	v_pk_mov_b32 v[2:3], v[0:1], v[0:1] op_sel:[0,1]
.LBB35_2:                               ; =>This Inner Loop Header: Depth=1
	s_waitcnt lgkmcnt(0)
	ds_write_b128 v6, v[2:5]
	; wave barrier
	ds_read_b128 v[2:5], v6
	s_add_i32 s0, s0, -1
	s_cmp_lg_u32 s0, 0
	; wave barrier
	s_cbranch_scc1 .LBB35_2
	s_branch .LBB35_4
.LBB35_3:
	v_pk_mov_b32 v[2:3], v[0:1], v[0:1] op_sel:[0,1]
.LBB35_4:
	s_load_dwordx2 s[0:1], s[4:5], 0x0
	v_lshl_or_b32 v0, s6, 8, v0
	v_mov_b32_e32 v1, 0
	v_lshlrev_b64 v[0:1], 4, v[0:1]
	s_waitcnt lgkmcnt(0)
	v_mov_b32_e32 v6, s1
	v_add_co_u32_e32 v0, vcc, s0, v0
	v_addc_co_u32_e32 v1, vcc, v6, v1, vcc
	global_store_dwordx4 v[0:1], v[2:5], off
	s_endpgm
	.section	.rodata,"a",@progbits
	.p2align	6, 0x0
	.amdhsa_kernel _Z20warp_exchange_kernelILj256ELj1ELj32EN6common18BlockedToStripedOpEnEvPT3_j
		.amdhsa_group_segment_fixed_size 4096
		.amdhsa_private_segment_fixed_size 0
		.amdhsa_kernarg_size 12
		.amdhsa_user_sgpr_count 6
		.amdhsa_user_sgpr_private_segment_buffer 1
		.amdhsa_user_sgpr_dispatch_ptr 0
		.amdhsa_user_sgpr_queue_ptr 0
		.amdhsa_user_sgpr_kernarg_segment_ptr 1
		.amdhsa_user_sgpr_dispatch_id 0
		.amdhsa_user_sgpr_flat_scratch_init 0
		.amdhsa_user_sgpr_kernarg_preload_length 0
		.amdhsa_user_sgpr_kernarg_preload_offset 0
		.amdhsa_user_sgpr_private_segment_size 0
		.amdhsa_uses_dynamic_stack 0
		.amdhsa_system_sgpr_private_segment_wavefront_offset 0
		.amdhsa_system_sgpr_workgroup_id_x 1
		.amdhsa_system_sgpr_workgroup_id_y 0
		.amdhsa_system_sgpr_workgroup_id_z 0
		.amdhsa_system_sgpr_workgroup_info 0
		.amdhsa_system_vgpr_workitem_id 0
		.amdhsa_next_free_vgpr 7
		.amdhsa_next_free_sgpr 7
		.amdhsa_accum_offset 8
		.amdhsa_reserve_vcc 1
		.amdhsa_reserve_flat_scratch 0
		.amdhsa_float_round_mode_32 0
		.amdhsa_float_round_mode_16_64 0
		.amdhsa_float_denorm_mode_32 3
		.amdhsa_float_denorm_mode_16_64 3
		.amdhsa_dx10_clamp 1
		.amdhsa_ieee_mode 1
		.amdhsa_fp16_overflow 0
		.amdhsa_tg_split 0
		.amdhsa_exception_fp_ieee_invalid_op 0
		.amdhsa_exception_fp_denorm_src 0
		.amdhsa_exception_fp_ieee_div_zero 0
		.amdhsa_exception_fp_ieee_overflow 0
		.amdhsa_exception_fp_ieee_underflow 0
		.amdhsa_exception_fp_ieee_inexact 0
		.amdhsa_exception_int_div_zero 0
	.end_amdhsa_kernel
	.section	.text._Z20warp_exchange_kernelILj256ELj1ELj32EN6common18BlockedToStripedOpEnEvPT3_j,"axG",@progbits,_Z20warp_exchange_kernelILj256ELj1ELj32EN6common18BlockedToStripedOpEnEvPT3_j,comdat
.Lfunc_end35:
	.size	_Z20warp_exchange_kernelILj256ELj1ELj32EN6common18BlockedToStripedOpEnEvPT3_j, .Lfunc_end35-_Z20warp_exchange_kernelILj256ELj1ELj32EN6common18BlockedToStripedOpEnEvPT3_j
                                        ; -- End function
	.section	.AMDGPU.csdata,"",@progbits
; Kernel info:
; codeLenInByte = 180
; NumSgprs: 11
; NumVgprs: 7
; NumAgprs: 0
; TotalNumVgprs: 7
; ScratchSize: 0
; MemoryBound: 0
; FloatMode: 240
; IeeeMode: 1
; LDSByteSize: 4096 bytes/workgroup (compile time only)
; SGPRBlocks: 1
; VGPRBlocks: 0
; NumSGPRsForWavesPerEU: 11
; NumVGPRsForWavesPerEU: 7
; AccumOffset: 8
; Occupancy: 8
; WaveLimiterHint : 0
; COMPUTE_PGM_RSRC2:SCRATCH_EN: 0
; COMPUTE_PGM_RSRC2:USER_SGPR: 6
; COMPUTE_PGM_RSRC2:TRAP_HANDLER: 0
; COMPUTE_PGM_RSRC2:TGID_X_EN: 1
; COMPUTE_PGM_RSRC2:TGID_Y_EN: 0
; COMPUTE_PGM_RSRC2:TGID_Z_EN: 0
; COMPUTE_PGM_RSRC2:TIDIG_COMP_CNT: 0
; COMPUTE_PGM_RSRC3_GFX90A:ACCUM_OFFSET: 1
; COMPUTE_PGM_RSRC3_GFX90A:TG_SPLIT: 0
	.section	.text._Z20warp_exchange_kernelILj256ELj4ELj16EN6common18BlockedToStripedOpEnEvPT3_j,"axG",@progbits,_Z20warp_exchange_kernelILj256ELj4ELj16EN6common18BlockedToStripedOpEnEvPT3_j,comdat
	.protected	_Z20warp_exchange_kernelILj256ELj4ELj16EN6common18BlockedToStripedOpEnEvPT3_j ; -- Begin function _Z20warp_exchange_kernelILj256ELj4ELj16EN6common18BlockedToStripedOpEnEvPT3_j
	.globl	_Z20warp_exchange_kernelILj256ELj4ELj16EN6common18BlockedToStripedOpEnEvPT3_j
	.p2align	8
	.type	_Z20warp_exchange_kernelILj256ELj4ELj16EN6common18BlockedToStripedOpEnEvPT3_j,@function
_Z20warp_exchange_kernelILj256ELj4ELj16EN6common18BlockedToStripedOpEnEvPT3_j: ; @_Z20warp_exchange_kernelILj256ELj4ELj16EN6common18BlockedToStripedOpEnEvPT3_j
; %bb.0:
	s_load_dword s0, s[4:5], 0x8
	v_lshlrev_b32_e32 v18, 2, v0
	v_or_b32_e32 v10, 1, v18
	v_or_b32_e32 v6, 2, v18
	;; [unrolled: 1-line block ×3, first 2 shown]
	s_waitcnt lgkmcnt(0)
	s_cmp_eq_u32 s0, 0
	s_cbranch_scc1 .LBB36_3
; %bb.1:
	v_mbcnt_lo_u32_b32 v1, -1, 0
	v_mbcnt_hi_u32_b32 v1, -1, v1
	v_and_b32_e32 v1, 15, v1
	v_mov_b32_e32 v3, 0
	v_lshlrev_b32_e32 v0, 6, v0
	v_lshlrev_b32_e32 v8, 6, v1
	s_movk_i32 s1, 0x3c00
	v_pk_mov_b32 v[4:5], 0, 0
	v_mov_b32_e32 v19, v3
	v_and_or_b32 v0, v0, s1, v8
	v_mul_i32_i24_e32 v1, 0xffffffd0, v1
	v_pk_mov_b32 v[16:17], 0, 0
	v_mov_b32_e32 v7, v3
	v_mov_b32_e32 v11, v3
	v_add_u32_e32 v1, v0, v1
	v_pk_mov_b32 v[8:9], v[4:5], v[4:5] op_sel:[0,1]
	v_pk_mov_b32 v[12:13], v[4:5], v[4:5] op_sel:[0,1]
	;; [unrolled: 1-line block ×3, first 2 shown]
.LBB36_2:                               ; =>This Inner Loop Header: Depth=1
	s_waitcnt lgkmcnt(3)
	ds_write_b128 v0, v[14:17]
	s_waitcnt lgkmcnt(3)
	ds_write_b128 v0, v[10:13] offset:16
	s_waitcnt lgkmcnt(3)
	ds_write_b128 v0, v[6:9] offset:32
	;; [unrolled: 2-line block ×3, first 2 shown]
	; wave barrier
	ds_read_b128 v[14:17], v1
	ds_read_b128 v[10:13], v1 offset:256
	ds_read_b128 v[6:9], v1 offset:512
	;; [unrolled: 1-line block ×3, first 2 shown]
	s_add_i32 s0, s0, -1
	s_cmp_lg_u32 s0, 0
	; wave barrier
	s_cbranch_scc1 .LBB36_2
	s_branch .LBB36_4
.LBB36_3:
	v_mov_b32_e32 v19, 0
	v_pk_mov_b32 v[16:17], 0, 0
	v_pk_mov_b32 v[4:5], 0, 0
	v_mov_b32_e32 v11, v19
	v_mov_b32_e32 v7, v19
	;; [unrolled: 1-line block ×3, first 2 shown]
	v_pk_mov_b32 v[14:15], v[18:19], v[18:19] op_sel:[0,1]
	v_pk_mov_b32 v[12:13], v[16:17], v[16:17] op_sel:[0,1]
	;; [unrolled: 1-line block ×3, first 2 shown]
.LBB36_4:
	s_load_dwordx2 s[0:1], s[4:5], 0x0
	v_lshl_or_b32 v0, s6, 10, v18
	v_mov_b32_e32 v1, 0
	v_lshlrev_b64 v[0:1], 4, v[0:1]
	s_waitcnt lgkmcnt(0)
	v_mov_b32_e32 v18, s1
	v_add_co_u32_e32 v0, vcc, s0, v0
	v_addc_co_u32_e32 v1, vcc, v18, v1, vcc
	global_store_dwordx4 v[0:1], v[14:17], off
	global_store_dwordx4 v[0:1], v[10:13], off offset:16
	global_store_dwordx4 v[0:1], v[6:9], off offset:32
	;; [unrolled: 1-line block ×3, first 2 shown]
	s_endpgm
	.section	.rodata,"a",@progbits
	.p2align	6, 0x0
	.amdhsa_kernel _Z20warp_exchange_kernelILj256ELj4ELj16EN6common18BlockedToStripedOpEnEvPT3_j
		.amdhsa_group_segment_fixed_size 16384
		.amdhsa_private_segment_fixed_size 0
		.amdhsa_kernarg_size 12
		.amdhsa_user_sgpr_count 6
		.amdhsa_user_sgpr_private_segment_buffer 1
		.amdhsa_user_sgpr_dispatch_ptr 0
		.amdhsa_user_sgpr_queue_ptr 0
		.amdhsa_user_sgpr_kernarg_segment_ptr 1
		.amdhsa_user_sgpr_dispatch_id 0
		.amdhsa_user_sgpr_flat_scratch_init 0
		.amdhsa_user_sgpr_kernarg_preload_length 0
		.amdhsa_user_sgpr_kernarg_preload_offset 0
		.amdhsa_user_sgpr_private_segment_size 0
		.amdhsa_uses_dynamic_stack 0
		.amdhsa_system_sgpr_private_segment_wavefront_offset 0
		.amdhsa_system_sgpr_workgroup_id_x 1
		.amdhsa_system_sgpr_workgroup_id_y 0
		.amdhsa_system_sgpr_workgroup_id_z 0
		.amdhsa_system_sgpr_workgroup_info 0
		.amdhsa_system_vgpr_workitem_id 0
		.amdhsa_next_free_vgpr 20
		.amdhsa_next_free_sgpr 7
		.amdhsa_accum_offset 20
		.amdhsa_reserve_vcc 1
		.amdhsa_reserve_flat_scratch 0
		.amdhsa_float_round_mode_32 0
		.amdhsa_float_round_mode_16_64 0
		.amdhsa_float_denorm_mode_32 3
		.amdhsa_float_denorm_mode_16_64 3
		.amdhsa_dx10_clamp 1
		.amdhsa_ieee_mode 1
		.amdhsa_fp16_overflow 0
		.amdhsa_tg_split 0
		.amdhsa_exception_fp_ieee_invalid_op 0
		.amdhsa_exception_fp_denorm_src 0
		.amdhsa_exception_fp_ieee_div_zero 0
		.amdhsa_exception_fp_ieee_overflow 0
		.amdhsa_exception_fp_ieee_underflow 0
		.amdhsa_exception_fp_ieee_inexact 0
		.amdhsa_exception_int_div_zero 0
	.end_amdhsa_kernel
	.section	.text._Z20warp_exchange_kernelILj256ELj4ELj16EN6common18BlockedToStripedOpEnEvPT3_j,"axG",@progbits,_Z20warp_exchange_kernelILj256ELj4ELj16EN6common18BlockedToStripedOpEnEvPT3_j,comdat
.Lfunc_end36:
	.size	_Z20warp_exchange_kernelILj256ELj4ELj16EN6common18BlockedToStripedOpEnEvPT3_j, .Lfunc_end36-_Z20warp_exchange_kernelILj256ELj4ELj16EN6common18BlockedToStripedOpEnEvPT3_j
                                        ; -- End function
	.section	.AMDGPU.csdata,"",@progbits
; Kernel info:
; codeLenInByte = 376
; NumSgprs: 11
; NumVgprs: 20
; NumAgprs: 0
; TotalNumVgprs: 20
; ScratchSize: 0
; MemoryBound: 0
; FloatMode: 240
; IeeeMode: 1
; LDSByteSize: 16384 bytes/workgroup (compile time only)
; SGPRBlocks: 1
; VGPRBlocks: 2
; NumSGPRsForWavesPerEU: 11
; NumVGPRsForWavesPerEU: 20
; AccumOffset: 20
; Occupancy: 4
; WaveLimiterHint : 0
; COMPUTE_PGM_RSRC2:SCRATCH_EN: 0
; COMPUTE_PGM_RSRC2:USER_SGPR: 6
; COMPUTE_PGM_RSRC2:TRAP_HANDLER: 0
; COMPUTE_PGM_RSRC2:TGID_X_EN: 1
; COMPUTE_PGM_RSRC2:TGID_Y_EN: 0
; COMPUTE_PGM_RSRC2:TGID_Z_EN: 0
; COMPUTE_PGM_RSRC2:TIDIG_COMP_CNT: 0
; COMPUTE_PGM_RSRC3_GFX90A:ACCUM_OFFSET: 4
; COMPUTE_PGM_RSRC3_GFX90A:TG_SPLIT: 0
	.section	.text._Z20warp_exchange_kernelILj256ELj4ELj32EN6common18BlockedToStripedOpEnEvPT3_j,"axG",@progbits,_Z20warp_exchange_kernelILj256ELj4ELj32EN6common18BlockedToStripedOpEnEvPT3_j,comdat
	.protected	_Z20warp_exchange_kernelILj256ELj4ELj32EN6common18BlockedToStripedOpEnEvPT3_j ; -- Begin function _Z20warp_exchange_kernelILj256ELj4ELj32EN6common18BlockedToStripedOpEnEvPT3_j
	.globl	_Z20warp_exchange_kernelILj256ELj4ELj32EN6common18BlockedToStripedOpEnEvPT3_j
	.p2align	8
	.type	_Z20warp_exchange_kernelILj256ELj4ELj32EN6common18BlockedToStripedOpEnEvPT3_j,@function
_Z20warp_exchange_kernelILj256ELj4ELj32EN6common18BlockedToStripedOpEnEvPT3_j: ; @_Z20warp_exchange_kernelILj256ELj4ELj32EN6common18BlockedToStripedOpEnEvPT3_j
; %bb.0:
	s_load_dword s0, s[4:5], 0x8
	v_lshlrev_b32_e32 v18, 2, v0
	v_or_b32_e32 v10, 1, v18
	v_or_b32_e32 v6, 2, v18
	;; [unrolled: 1-line block ×3, first 2 shown]
	s_waitcnt lgkmcnt(0)
	s_cmp_eq_u32 s0, 0
	s_cbranch_scc1 .LBB37_3
; %bb.1:
	v_mbcnt_lo_u32_b32 v1, -1, 0
	v_mbcnt_hi_u32_b32 v1, -1, v1
	v_and_b32_e32 v1, 31, v1
	v_mov_b32_e32 v3, 0
	v_lshlrev_b32_e32 v0, 6, v0
	v_lshlrev_b32_e32 v8, 6, v1
	s_movk_i32 s1, 0x3800
	v_pk_mov_b32 v[4:5], 0, 0
	v_mov_b32_e32 v19, v3
	v_and_or_b32 v0, v0, s1, v8
	v_mul_i32_i24_e32 v1, 0xffffffd0, v1
	v_pk_mov_b32 v[16:17], 0, 0
	v_mov_b32_e32 v7, v3
	v_mov_b32_e32 v11, v3
	v_add_u32_e32 v1, v0, v1
	v_pk_mov_b32 v[8:9], v[4:5], v[4:5] op_sel:[0,1]
	v_pk_mov_b32 v[12:13], v[4:5], v[4:5] op_sel:[0,1]
	;; [unrolled: 1-line block ×3, first 2 shown]
.LBB37_2:                               ; =>This Inner Loop Header: Depth=1
	s_waitcnt lgkmcnt(3)
	ds_write_b128 v0, v[14:17]
	s_waitcnt lgkmcnt(3)
	ds_write_b128 v0, v[10:13] offset:16
	s_waitcnt lgkmcnt(3)
	ds_write_b128 v0, v[6:9] offset:32
	;; [unrolled: 2-line block ×3, first 2 shown]
	; wave barrier
	ds_read_b128 v[14:17], v1
	ds_read_b128 v[10:13], v1 offset:512
	ds_read_b128 v[6:9], v1 offset:1024
	;; [unrolled: 1-line block ×3, first 2 shown]
	s_add_i32 s0, s0, -1
	s_cmp_lg_u32 s0, 0
	; wave barrier
	s_cbranch_scc1 .LBB37_2
	s_branch .LBB37_4
.LBB37_3:
	v_mov_b32_e32 v19, 0
	v_pk_mov_b32 v[16:17], 0, 0
	v_pk_mov_b32 v[4:5], 0, 0
	v_mov_b32_e32 v11, v19
	v_mov_b32_e32 v7, v19
	;; [unrolled: 1-line block ×3, first 2 shown]
	v_pk_mov_b32 v[14:15], v[18:19], v[18:19] op_sel:[0,1]
	v_pk_mov_b32 v[12:13], v[16:17], v[16:17] op_sel:[0,1]
	v_pk_mov_b32 v[8:9], v[16:17], v[16:17] op_sel:[0,1]
.LBB37_4:
	s_load_dwordx2 s[0:1], s[4:5], 0x0
	v_lshl_or_b32 v0, s6, 10, v18
	v_mov_b32_e32 v1, 0
	v_lshlrev_b64 v[0:1], 4, v[0:1]
	s_waitcnt lgkmcnt(0)
	v_mov_b32_e32 v18, s1
	v_add_co_u32_e32 v0, vcc, s0, v0
	v_addc_co_u32_e32 v1, vcc, v18, v1, vcc
	global_store_dwordx4 v[0:1], v[14:17], off
	global_store_dwordx4 v[0:1], v[10:13], off offset:16
	global_store_dwordx4 v[0:1], v[6:9], off offset:32
	;; [unrolled: 1-line block ×3, first 2 shown]
	s_endpgm
	.section	.rodata,"a",@progbits
	.p2align	6, 0x0
	.amdhsa_kernel _Z20warp_exchange_kernelILj256ELj4ELj32EN6common18BlockedToStripedOpEnEvPT3_j
		.amdhsa_group_segment_fixed_size 16384
		.amdhsa_private_segment_fixed_size 0
		.amdhsa_kernarg_size 12
		.amdhsa_user_sgpr_count 6
		.amdhsa_user_sgpr_private_segment_buffer 1
		.amdhsa_user_sgpr_dispatch_ptr 0
		.amdhsa_user_sgpr_queue_ptr 0
		.amdhsa_user_sgpr_kernarg_segment_ptr 1
		.amdhsa_user_sgpr_dispatch_id 0
		.amdhsa_user_sgpr_flat_scratch_init 0
		.amdhsa_user_sgpr_kernarg_preload_length 0
		.amdhsa_user_sgpr_kernarg_preload_offset 0
		.amdhsa_user_sgpr_private_segment_size 0
		.amdhsa_uses_dynamic_stack 0
		.amdhsa_system_sgpr_private_segment_wavefront_offset 0
		.amdhsa_system_sgpr_workgroup_id_x 1
		.amdhsa_system_sgpr_workgroup_id_y 0
		.amdhsa_system_sgpr_workgroup_id_z 0
		.amdhsa_system_sgpr_workgroup_info 0
		.amdhsa_system_vgpr_workitem_id 0
		.amdhsa_next_free_vgpr 20
		.amdhsa_next_free_sgpr 7
		.amdhsa_accum_offset 20
		.amdhsa_reserve_vcc 1
		.amdhsa_reserve_flat_scratch 0
		.amdhsa_float_round_mode_32 0
		.amdhsa_float_round_mode_16_64 0
		.amdhsa_float_denorm_mode_32 3
		.amdhsa_float_denorm_mode_16_64 3
		.amdhsa_dx10_clamp 1
		.amdhsa_ieee_mode 1
		.amdhsa_fp16_overflow 0
		.amdhsa_tg_split 0
		.amdhsa_exception_fp_ieee_invalid_op 0
		.amdhsa_exception_fp_denorm_src 0
		.amdhsa_exception_fp_ieee_div_zero 0
		.amdhsa_exception_fp_ieee_overflow 0
		.amdhsa_exception_fp_ieee_underflow 0
		.amdhsa_exception_fp_ieee_inexact 0
		.amdhsa_exception_int_div_zero 0
	.end_amdhsa_kernel
	.section	.text._Z20warp_exchange_kernelILj256ELj4ELj32EN6common18BlockedToStripedOpEnEvPT3_j,"axG",@progbits,_Z20warp_exchange_kernelILj256ELj4ELj32EN6common18BlockedToStripedOpEnEvPT3_j,comdat
.Lfunc_end37:
	.size	_Z20warp_exchange_kernelILj256ELj4ELj32EN6common18BlockedToStripedOpEnEvPT3_j, .Lfunc_end37-_Z20warp_exchange_kernelILj256ELj4ELj32EN6common18BlockedToStripedOpEnEvPT3_j
                                        ; -- End function
	.section	.AMDGPU.csdata,"",@progbits
; Kernel info:
; codeLenInByte = 376
; NumSgprs: 11
; NumVgprs: 20
; NumAgprs: 0
; TotalNumVgprs: 20
; ScratchSize: 0
; MemoryBound: 0
; FloatMode: 240
; IeeeMode: 1
; LDSByteSize: 16384 bytes/workgroup (compile time only)
; SGPRBlocks: 1
; VGPRBlocks: 2
; NumSGPRsForWavesPerEU: 11
; NumVGPRsForWavesPerEU: 20
; AccumOffset: 20
; Occupancy: 4
; WaveLimiterHint : 0
; COMPUTE_PGM_RSRC2:SCRATCH_EN: 0
; COMPUTE_PGM_RSRC2:USER_SGPR: 6
; COMPUTE_PGM_RSRC2:TRAP_HANDLER: 0
; COMPUTE_PGM_RSRC2:TGID_X_EN: 1
; COMPUTE_PGM_RSRC2:TGID_Y_EN: 0
; COMPUTE_PGM_RSRC2:TGID_Z_EN: 0
; COMPUTE_PGM_RSRC2:TIDIG_COMP_CNT: 0
; COMPUTE_PGM_RSRC3_GFX90A:ACCUM_OFFSET: 4
; COMPUTE_PGM_RSRC3_GFX90A:TG_SPLIT: 0
	.section	.text._Z20warp_exchange_kernelILj256ELj16ELj16EN6common18BlockedToStripedOpEnEvPT3_j,"axG",@progbits,_Z20warp_exchange_kernelILj256ELj16ELj16EN6common18BlockedToStripedOpEnEvPT3_j,comdat
	.protected	_Z20warp_exchange_kernelILj256ELj16ELj16EN6common18BlockedToStripedOpEnEvPT3_j ; -- Begin function _Z20warp_exchange_kernelILj256ELj16ELj16EN6common18BlockedToStripedOpEnEvPT3_j
	.globl	_Z20warp_exchange_kernelILj256ELj16ELj16EN6common18BlockedToStripedOpEnEvPT3_j
	.p2align	8
	.type	_Z20warp_exchange_kernelILj256ELj16ELj16EN6common18BlockedToStripedOpEnEvPT3_j,@function
_Z20warp_exchange_kernelILj256ELj16ELj16EN6common18BlockedToStripedOpEnEvPT3_j: ; @_Z20warp_exchange_kernelILj256ELj16ELj16EN6common18BlockedToStripedOpEnEvPT3_j
; %bb.0:
	s_load_dword s0, s[4:5], 0x8
	v_lshlrev_b32_e32 v66, 4, v0
	v_or_b32_e32 v58, 1, v66
	v_or_b32_e32 v54, 2, v66
	;; [unrolled: 1-line block ×14, first 2 shown]
	s_waitcnt lgkmcnt(0)
	s_cmp_eq_u32 s0, 0
	v_or_b32_e32 v2, 15, v66
	s_cbranch_scc1 .LBB38_3
; %bb.1:
	v_mbcnt_lo_u32_b32 v1, -1, 0
	v_mbcnt_hi_u32_b32 v1, -1, v1
	v_and_b32_e32 v1, 15, v1
	v_mov_b32_e32 v3, 0
	v_lshlrev_b32_e32 v0, 8, v0
	v_lshlrev_b32_e32 v8, 8, v1
	s_mov_b32 s1, 0xf000
	v_pk_mov_b32 v[4:5], 0, 0
	v_mov_b32_e32 v67, v3
	v_and_or_b32 v0, v0, s1, v8
	v_mul_i32_i24_e32 v1, 0xffffff10, v1
	v_pk_mov_b32 v[64:65], 0, 0
	v_mov_b32_e32 v7, v3
	v_mov_b32_e32 v11, v3
	;; [unrolled: 1-line block ×14, first 2 shown]
	v_add_u32_e32 v1, v0, v1
	v_pk_mov_b32 v[8:9], v[4:5], v[4:5] op_sel:[0,1]
	v_pk_mov_b32 v[12:13], v[4:5], v[4:5] op_sel:[0,1]
	;; [unrolled: 1-line block ×15, first 2 shown]
.LBB38_2:                               ; =>This Inner Loop Header: Depth=1
	s_waitcnt lgkmcnt(14)
	ds_write_b128 v0, v[62:65]
	ds_write_b128 v0, v[58:61] offset:16
	s_waitcnt lgkmcnt(14)
	ds_write_b128 v0, v[54:57] offset:32
	ds_write_b128 v0, v[50:53] offset:48
	s_waitcnt lgkmcnt(14)
	ds_write_b128 v0, v[46:49] offset:64
	ds_write_b128 v0, v[42:45] offset:80
	s_waitcnt lgkmcnt(14)
	ds_write_b128 v0, v[38:41] offset:96
	ds_write_b128 v0, v[34:37] offset:112
	s_waitcnt lgkmcnt(14)
	ds_write_b128 v0, v[30:33] offset:128
	ds_write_b128 v0, v[26:29] offset:144
	s_waitcnt lgkmcnt(14)
	ds_write_b128 v0, v[22:25] offset:160
	ds_write_b128 v0, v[18:21] offset:176
	s_waitcnt lgkmcnt(14)
	ds_write_b128 v0, v[14:17] offset:192
	ds_write_b128 v0, v[10:13] offset:208
	s_waitcnt lgkmcnt(14)
	ds_write_b128 v0, v[6:9] offset:224
	ds_write_b128 v0, v[2:5] offset:240
	; wave barrier
	ds_read_b128 v[62:65], v1
	ds_read_b128 v[58:61], v1 offset:256
	ds_read_b128 v[54:57], v1 offset:512
	;; [unrolled: 1-line block ×15, first 2 shown]
	s_add_i32 s0, s0, -1
	s_cmp_lg_u32 s0, 0
	; wave barrier
	s_cbranch_scc1 .LBB38_2
	s_branch .LBB38_4
.LBB38_3:
	v_mov_b32_e32 v67, 0
	v_pk_mov_b32 v[64:65], 0, 0
	v_pk_mov_b32 v[4:5], 0, 0
	v_mov_b32_e32 v59, v67
	v_mov_b32_e32 v55, v67
	;; [unrolled: 1-line block ×15, first 2 shown]
	v_pk_mov_b32 v[62:63], v[66:67], v[66:67] op_sel:[0,1]
	v_pk_mov_b32 v[60:61], v[64:65], v[64:65] op_sel:[0,1]
	;; [unrolled: 1-line block ×15, first 2 shown]
.LBB38_4:
	s_load_dwordx2 s[0:1], s[4:5], 0x0
	v_lshl_or_b32 v0, s6, 12, v66
	v_mov_b32_e32 v1, 0
	v_lshlrev_b64 v[0:1], 4, v[0:1]
	s_waitcnt lgkmcnt(0)
	v_mov_b32_e32 v66, s1
	v_add_co_u32_e32 v0, vcc, s0, v0
	v_addc_co_u32_e32 v1, vcc, v66, v1, vcc
	global_store_dwordx4 v[0:1], v[62:65], off
	global_store_dwordx4 v[0:1], v[58:61], off offset:16
	global_store_dwordx4 v[0:1], v[54:57], off offset:32
	;; [unrolled: 1-line block ×15, first 2 shown]
	s_endpgm
	.section	.rodata,"a",@progbits
	.p2align	6, 0x0
	.amdhsa_kernel _Z20warp_exchange_kernelILj256ELj16ELj16EN6common18BlockedToStripedOpEnEvPT3_j
		.amdhsa_group_segment_fixed_size 65536
		.amdhsa_private_segment_fixed_size 0
		.amdhsa_kernarg_size 12
		.amdhsa_user_sgpr_count 6
		.amdhsa_user_sgpr_private_segment_buffer 1
		.amdhsa_user_sgpr_dispatch_ptr 0
		.amdhsa_user_sgpr_queue_ptr 0
		.amdhsa_user_sgpr_kernarg_segment_ptr 1
		.amdhsa_user_sgpr_dispatch_id 0
		.amdhsa_user_sgpr_flat_scratch_init 0
		.amdhsa_user_sgpr_kernarg_preload_length 0
		.amdhsa_user_sgpr_kernarg_preload_offset 0
		.amdhsa_user_sgpr_private_segment_size 0
		.amdhsa_uses_dynamic_stack 0
		.amdhsa_system_sgpr_private_segment_wavefront_offset 0
		.amdhsa_system_sgpr_workgroup_id_x 1
		.amdhsa_system_sgpr_workgroup_id_y 0
		.amdhsa_system_sgpr_workgroup_id_z 0
		.amdhsa_system_sgpr_workgroup_info 0
		.amdhsa_system_vgpr_workitem_id 0
		.amdhsa_next_free_vgpr 68
		.amdhsa_next_free_sgpr 7
		.amdhsa_accum_offset 68
		.amdhsa_reserve_vcc 1
		.amdhsa_reserve_flat_scratch 0
		.amdhsa_float_round_mode_32 0
		.amdhsa_float_round_mode_16_64 0
		.amdhsa_float_denorm_mode_32 3
		.amdhsa_float_denorm_mode_16_64 3
		.amdhsa_dx10_clamp 1
		.amdhsa_ieee_mode 1
		.amdhsa_fp16_overflow 0
		.amdhsa_tg_split 0
		.amdhsa_exception_fp_ieee_invalid_op 0
		.amdhsa_exception_fp_denorm_src 0
		.amdhsa_exception_fp_ieee_div_zero 0
		.amdhsa_exception_fp_ieee_overflow 0
		.amdhsa_exception_fp_ieee_underflow 0
		.amdhsa_exception_fp_ieee_inexact 0
		.amdhsa_exception_int_div_zero 0
	.end_amdhsa_kernel
	.section	.text._Z20warp_exchange_kernelILj256ELj16ELj16EN6common18BlockedToStripedOpEnEvPT3_j,"axG",@progbits,_Z20warp_exchange_kernelILj256ELj16ELj16EN6common18BlockedToStripedOpEnEvPT3_j,comdat
.Lfunc_end38:
	.size	_Z20warp_exchange_kernelILj256ELj16ELj16EN6common18BlockedToStripedOpEnEvPT3_j, .Lfunc_end38-_Z20warp_exchange_kernelILj256ELj16ELj16EN6common18BlockedToStripedOpEnEvPT3_j
                                        ; -- End function
	.section	.AMDGPU.csdata,"",@progbits
; Kernel info:
; codeLenInByte = 1020
; NumSgprs: 11
; NumVgprs: 68
; NumAgprs: 0
; TotalNumVgprs: 68
; ScratchSize: 0
; MemoryBound: 1
; FloatMode: 240
; IeeeMode: 1
; LDSByteSize: 65536 bytes/workgroup (compile time only)
; SGPRBlocks: 1
; VGPRBlocks: 8
; NumSGPRsForWavesPerEU: 11
; NumVGPRsForWavesPerEU: 68
; AccumOffset: 68
; Occupancy: 1
; WaveLimiterHint : 1
; COMPUTE_PGM_RSRC2:SCRATCH_EN: 0
; COMPUTE_PGM_RSRC2:USER_SGPR: 6
; COMPUTE_PGM_RSRC2:TRAP_HANDLER: 0
; COMPUTE_PGM_RSRC2:TGID_X_EN: 1
; COMPUTE_PGM_RSRC2:TGID_Y_EN: 0
; COMPUTE_PGM_RSRC2:TGID_Z_EN: 0
; COMPUTE_PGM_RSRC2:TIDIG_COMP_CNT: 0
; COMPUTE_PGM_RSRC3_GFX90A:ACCUM_OFFSET: 16
; COMPUTE_PGM_RSRC3_GFX90A:TG_SPLIT: 0
	.section	.text._Z20warp_exchange_kernelILj256ELj16ELj32EN6common18BlockedToStripedOpEnEvPT3_j,"axG",@progbits,_Z20warp_exchange_kernelILj256ELj16ELj32EN6common18BlockedToStripedOpEnEvPT3_j,comdat
	.protected	_Z20warp_exchange_kernelILj256ELj16ELj32EN6common18BlockedToStripedOpEnEvPT3_j ; -- Begin function _Z20warp_exchange_kernelILj256ELj16ELj32EN6common18BlockedToStripedOpEnEvPT3_j
	.globl	_Z20warp_exchange_kernelILj256ELj16ELj32EN6common18BlockedToStripedOpEnEvPT3_j
	.p2align	8
	.type	_Z20warp_exchange_kernelILj256ELj16ELj32EN6common18BlockedToStripedOpEnEvPT3_j,@function
_Z20warp_exchange_kernelILj256ELj16ELj32EN6common18BlockedToStripedOpEnEvPT3_j: ; @_Z20warp_exchange_kernelILj256ELj16ELj32EN6common18BlockedToStripedOpEnEvPT3_j
; %bb.0:
	s_load_dword s0, s[4:5], 0x8
	v_lshlrev_b32_e32 v66, 4, v0
	v_or_b32_e32 v58, 1, v66
	v_or_b32_e32 v54, 2, v66
	;; [unrolled: 1-line block ×14, first 2 shown]
	s_waitcnt lgkmcnt(0)
	s_cmp_eq_u32 s0, 0
	v_or_b32_e32 v2, 15, v66
	s_cbranch_scc1 .LBB39_3
; %bb.1:
	v_mbcnt_lo_u32_b32 v1, -1, 0
	v_mbcnt_hi_u32_b32 v1, -1, v1
	v_and_b32_e32 v1, 31, v1
	v_mov_b32_e32 v3, 0
	v_lshlrev_b32_e32 v0, 8, v0
	v_lshlrev_b32_e32 v8, 8, v1
	s_mov_b32 s1, 0xe000
	v_pk_mov_b32 v[4:5], 0, 0
	v_mov_b32_e32 v67, v3
	v_and_or_b32 v0, v0, s1, v8
	v_mul_i32_i24_e32 v1, 0xffffff10, v1
	v_pk_mov_b32 v[64:65], 0, 0
	v_mov_b32_e32 v7, v3
	v_mov_b32_e32 v11, v3
	;; [unrolled: 1-line block ×14, first 2 shown]
	v_add_u32_e32 v1, v0, v1
	v_pk_mov_b32 v[8:9], v[4:5], v[4:5] op_sel:[0,1]
	v_pk_mov_b32 v[12:13], v[4:5], v[4:5] op_sel:[0,1]
	;; [unrolled: 1-line block ×15, first 2 shown]
.LBB39_2:                               ; =>This Inner Loop Header: Depth=1
	s_waitcnt lgkmcnt(14)
	ds_write_b128 v0, v[62:65]
	ds_write_b128 v0, v[58:61] offset:16
	s_waitcnt lgkmcnt(14)
	ds_write_b128 v0, v[54:57] offset:32
	ds_write_b128 v0, v[50:53] offset:48
	s_waitcnt lgkmcnt(14)
	ds_write_b128 v0, v[46:49] offset:64
	;; [unrolled: 3-line block ×7, first 2 shown]
	ds_write_b128 v0, v[2:5] offset:240
	; wave barrier
	ds_read_b128 v[62:65], v1
	ds_read_b128 v[58:61], v1 offset:512
	ds_read_b128 v[54:57], v1 offset:1024
	;; [unrolled: 1-line block ×15, first 2 shown]
	s_add_i32 s0, s0, -1
	s_cmp_lg_u32 s0, 0
	; wave barrier
	s_cbranch_scc1 .LBB39_2
	s_branch .LBB39_4
.LBB39_3:
	v_mov_b32_e32 v67, 0
	v_pk_mov_b32 v[64:65], 0, 0
	v_pk_mov_b32 v[4:5], 0, 0
	v_mov_b32_e32 v59, v67
	v_mov_b32_e32 v55, v67
	v_mov_b32_e32 v51, v67
	v_mov_b32_e32 v47, v67
	v_mov_b32_e32 v43, v67
	v_mov_b32_e32 v39, v67
	v_mov_b32_e32 v35, v67
	v_mov_b32_e32 v31, v67
	v_mov_b32_e32 v27, v67
	v_mov_b32_e32 v23, v67
	v_mov_b32_e32 v19, v67
	v_mov_b32_e32 v15, v67
	v_mov_b32_e32 v11, v67
	v_mov_b32_e32 v7, v67
	v_mov_b32_e32 v3, v67
	v_pk_mov_b32 v[62:63], v[66:67], v[66:67] op_sel:[0,1]
	v_pk_mov_b32 v[60:61], v[64:65], v[64:65] op_sel:[0,1]
	;; [unrolled: 1-line block ×15, first 2 shown]
.LBB39_4:
	s_load_dwordx2 s[0:1], s[4:5], 0x0
	v_lshl_or_b32 v0, s6, 12, v66
	v_mov_b32_e32 v1, 0
	v_lshlrev_b64 v[0:1], 4, v[0:1]
	s_waitcnt lgkmcnt(0)
	v_mov_b32_e32 v66, s1
	v_add_co_u32_e32 v0, vcc, s0, v0
	v_addc_co_u32_e32 v1, vcc, v66, v1, vcc
	global_store_dwordx4 v[0:1], v[62:65], off
	global_store_dwordx4 v[0:1], v[58:61], off offset:16
	global_store_dwordx4 v[0:1], v[54:57], off offset:32
	global_store_dwordx4 v[0:1], v[50:53], off offset:48
	global_store_dwordx4 v[0:1], v[46:49], off offset:64
	global_store_dwordx4 v[0:1], v[42:45], off offset:80
	global_store_dwordx4 v[0:1], v[38:41], off offset:96
	global_store_dwordx4 v[0:1], v[34:37], off offset:112
	global_store_dwordx4 v[0:1], v[30:33], off offset:128
	global_store_dwordx4 v[0:1], v[26:29], off offset:144
	global_store_dwordx4 v[0:1], v[22:25], off offset:160
	global_store_dwordx4 v[0:1], v[18:21], off offset:176
	global_store_dwordx4 v[0:1], v[14:17], off offset:192
	global_store_dwordx4 v[0:1], v[10:13], off offset:208
	global_store_dwordx4 v[0:1], v[6:9], off offset:224
	global_store_dwordx4 v[0:1], v[2:5], off offset:240
	s_endpgm
	.section	.rodata,"a",@progbits
	.p2align	6, 0x0
	.amdhsa_kernel _Z20warp_exchange_kernelILj256ELj16ELj32EN6common18BlockedToStripedOpEnEvPT3_j
		.amdhsa_group_segment_fixed_size 65536
		.amdhsa_private_segment_fixed_size 0
		.amdhsa_kernarg_size 12
		.amdhsa_user_sgpr_count 6
		.amdhsa_user_sgpr_private_segment_buffer 1
		.amdhsa_user_sgpr_dispatch_ptr 0
		.amdhsa_user_sgpr_queue_ptr 0
		.amdhsa_user_sgpr_kernarg_segment_ptr 1
		.amdhsa_user_sgpr_dispatch_id 0
		.amdhsa_user_sgpr_flat_scratch_init 0
		.amdhsa_user_sgpr_kernarg_preload_length 0
		.amdhsa_user_sgpr_kernarg_preload_offset 0
		.amdhsa_user_sgpr_private_segment_size 0
		.amdhsa_uses_dynamic_stack 0
		.amdhsa_system_sgpr_private_segment_wavefront_offset 0
		.amdhsa_system_sgpr_workgroup_id_x 1
		.amdhsa_system_sgpr_workgroup_id_y 0
		.amdhsa_system_sgpr_workgroup_id_z 0
		.amdhsa_system_sgpr_workgroup_info 0
		.amdhsa_system_vgpr_workitem_id 0
		.amdhsa_next_free_vgpr 68
		.amdhsa_next_free_sgpr 7
		.amdhsa_accum_offset 68
		.amdhsa_reserve_vcc 1
		.amdhsa_reserve_flat_scratch 0
		.amdhsa_float_round_mode_32 0
		.amdhsa_float_round_mode_16_64 0
		.amdhsa_float_denorm_mode_32 3
		.amdhsa_float_denorm_mode_16_64 3
		.amdhsa_dx10_clamp 1
		.amdhsa_ieee_mode 1
		.amdhsa_fp16_overflow 0
		.amdhsa_tg_split 0
		.amdhsa_exception_fp_ieee_invalid_op 0
		.amdhsa_exception_fp_denorm_src 0
		.amdhsa_exception_fp_ieee_div_zero 0
		.amdhsa_exception_fp_ieee_overflow 0
		.amdhsa_exception_fp_ieee_underflow 0
		.amdhsa_exception_fp_ieee_inexact 0
		.amdhsa_exception_int_div_zero 0
	.end_amdhsa_kernel
	.section	.text._Z20warp_exchange_kernelILj256ELj16ELj32EN6common18BlockedToStripedOpEnEvPT3_j,"axG",@progbits,_Z20warp_exchange_kernelILj256ELj16ELj32EN6common18BlockedToStripedOpEnEvPT3_j,comdat
.Lfunc_end39:
	.size	_Z20warp_exchange_kernelILj256ELj16ELj32EN6common18BlockedToStripedOpEnEvPT3_j, .Lfunc_end39-_Z20warp_exchange_kernelILj256ELj16ELj32EN6common18BlockedToStripedOpEnEvPT3_j
                                        ; -- End function
	.section	.AMDGPU.csdata,"",@progbits
; Kernel info:
; codeLenInByte = 1020
; NumSgprs: 11
; NumVgprs: 68
; NumAgprs: 0
; TotalNumVgprs: 68
; ScratchSize: 0
; MemoryBound: 1
; FloatMode: 240
; IeeeMode: 1
; LDSByteSize: 65536 bytes/workgroup (compile time only)
; SGPRBlocks: 1
; VGPRBlocks: 8
; NumSGPRsForWavesPerEU: 11
; NumVGPRsForWavesPerEU: 68
; AccumOffset: 68
; Occupancy: 1
; WaveLimiterHint : 1
; COMPUTE_PGM_RSRC2:SCRATCH_EN: 0
; COMPUTE_PGM_RSRC2:USER_SGPR: 6
; COMPUTE_PGM_RSRC2:TRAP_HANDLER: 0
; COMPUTE_PGM_RSRC2:TGID_X_EN: 1
; COMPUTE_PGM_RSRC2:TGID_Y_EN: 0
; COMPUTE_PGM_RSRC2:TGID_Z_EN: 0
; COMPUTE_PGM_RSRC2:TIDIG_COMP_CNT: 0
; COMPUTE_PGM_RSRC3_GFX90A:ACCUM_OFFSET: 16
; COMPUTE_PGM_RSRC3_GFX90A:TG_SPLIT: 0
	.section	.text._Z20warp_exchange_kernelILj256ELj1ELj16EN6common18StripedToBlockedOpEnEvPT3_j,"axG",@progbits,_Z20warp_exchange_kernelILj256ELj1ELj16EN6common18StripedToBlockedOpEnEvPT3_j,comdat
	.protected	_Z20warp_exchange_kernelILj256ELj1ELj16EN6common18StripedToBlockedOpEnEvPT3_j ; -- Begin function _Z20warp_exchange_kernelILj256ELj1ELj16EN6common18StripedToBlockedOpEnEvPT3_j
	.globl	_Z20warp_exchange_kernelILj256ELj1ELj16EN6common18StripedToBlockedOpEnEvPT3_j
	.p2align	8
	.type	_Z20warp_exchange_kernelILj256ELj1ELj16EN6common18StripedToBlockedOpEnEvPT3_j,@function
_Z20warp_exchange_kernelILj256ELj1ELj16EN6common18StripedToBlockedOpEnEvPT3_j: ; @_Z20warp_exchange_kernelILj256ELj1ELj16EN6common18StripedToBlockedOpEnEvPT3_j
; %bb.0:
	s_load_dword s0, s[4:5], 0x8
	v_mov_b32_e32 v1, 0
	v_pk_mov_b32 v[4:5], 0, 0
	s_waitcnt lgkmcnt(0)
	s_cmp_eq_u32 s0, 0
	s_cbranch_scc1 .LBB40_3
; %bb.1:
	v_mbcnt_lo_u32_b32 v3, -1, 0
	v_mbcnt_hi_u32_b32 v3, -1, v3
	v_and_b32_e32 v3, 15, v3
	v_lshlrev_b32_e32 v2, 4, v0
	v_lshlrev_b32_e32 v3, 4, v3
	s_movk_i32 s1, 0xf00
	v_and_or_b32 v6, v2, s1, v3
	v_pk_mov_b32 v[2:3], v[0:1], v[0:1] op_sel:[0,1]
.LBB40_2:                               ; =>This Inner Loop Header: Depth=1
	s_waitcnt lgkmcnt(0)
	ds_write_b128 v6, v[2:5]
	; wave barrier
	ds_read_b128 v[2:5], v6
	s_add_i32 s0, s0, -1
	s_cmp_lg_u32 s0, 0
	; wave barrier
	s_cbranch_scc1 .LBB40_2
	s_branch .LBB40_4
.LBB40_3:
	v_pk_mov_b32 v[2:3], v[0:1], v[0:1] op_sel:[0,1]
.LBB40_4:
	s_load_dwordx2 s[0:1], s[4:5], 0x0
	v_lshl_or_b32 v0, s6, 8, v0
	v_mov_b32_e32 v1, 0
	v_lshlrev_b64 v[0:1], 4, v[0:1]
	s_waitcnt lgkmcnt(0)
	v_mov_b32_e32 v6, s1
	v_add_co_u32_e32 v0, vcc, s0, v0
	v_addc_co_u32_e32 v1, vcc, v6, v1, vcc
	global_store_dwordx4 v[0:1], v[2:5], off
	s_endpgm
	.section	.rodata,"a",@progbits
	.p2align	6, 0x0
	.amdhsa_kernel _Z20warp_exchange_kernelILj256ELj1ELj16EN6common18StripedToBlockedOpEnEvPT3_j
		.amdhsa_group_segment_fixed_size 4096
		.amdhsa_private_segment_fixed_size 0
		.amdhsa_kernarg_size 12
		.amdhsa_user_sgpr_count 6
		.amdhsa_user_sgpr_private_segment_buffer 1
		.amdhsa_user_sgpr_dispatch_ptr 0
		.amdhsa_user_sgpr_queue_ptr 0
		.amdhsa_user_sgpr_kernarg_segment_ptr 1
		.amdhsa_user_sgpr_dispatch_id 0
		.amdhsa_user_sgpr_flat_scratch_init 0
		.amdhsa_user_sgpr_kernarg_preload_length 0
		.amdhsa_user_sgpr_kernarg_preload_offset 0
		.amdhsa_user_sgpr_private_segment_size 0
		.amdhsa_uses_dynamic_stack 0
		.amdhsa_system_sgpr_private_segment_wavefront_offset 0
		.amdhsa_system_sgpr_workgroup_id_x 1
		.amdhsa_system_sgpr_workgroup_id_y 0
		.amdhsa_system_sgpr_workgroup_id_z 0
		.amdhsa_system_sgpr_workgroup_info 0
		.amdhsa_system_vgpr_workitem_id 0
		.amdhsa_next_free_vgpr 7
		.amdhsa_next_free_sgpr 7
		.amdhsa_accum_offset 8
		.amdhsa_reserve_vcc 1
		.amdhsa_reserve_flat_scratch 0
		.amdhsa_float_round_mode_32 0
		.amdhsa_float_round_mode_16_64 0
		.amdhsa_float_denorm_mode_32 3
		.amdhsa_float_denorm_mode_16_64 3
		.amdhsa_dx10_clamp 1
		.amdhsa_ieee_mode 1
		.amdhsa_fp16_overflow 0
		.amdhsa_tg_split 0
		.amdhsa_exception_fp_ieee_invalid_op 0
		.amdhsa_exception_fp_denorm_src 0
		.amdhsa_exception_fp_ieee_div_zero 0
		.amdhsa_exception_fp_ieee_overflow 0
		.amdhsa_exception_fp_ieee_underflow 0
		.amdhsa_exception_fp_ieee_inexact 0
		.amdhsa_exception_int_div_zero 0
	.end_amdhsa_kernel
	.section	.text._Z20warp_exchange_kernelILj256ELj1ELj16EN6common18StripedToBlockedOpEnEvPT3_j,"axG",@progbits,_Z20warp_exchange_kernelILj256ELj1ELj16EN6common18StripedToBlockedOpEnEvPT3_j,comdat
.Lfunc_end40:
	.size	_Z20warp_exchange_kernelILj256ELj1ELj16EN6common18StripedToBlockedOpEnEvPT3_j, .Lfunc_end40-_Z20warp_exchange_kernelILj256ELj1ELj16EN6common18StripedToBlockedOpEnEvPT3_j
                                        ; -- End function
	.section	.AMDGPU.csdata,"",@progbits
; Kernel info:
; codeLenInByte = 180
; NumSgprs: 11
; NumVgprs: 7
; NumAgprs: 0
; TotalNumVgprs: 7
; ScratchSize: 0
; MemoryBound: 0
; FloatMode: 240
; IeeeMode: 1
; LDSByteSize: 4096 bytes/workgroup (compile time only)
; SGPRBlocks: 1
; VGPRBlocks: 0
; NumSGPRsForWavesPerEU: 11
; NumVGPRsForWavesPerEU: 7
; AccumOffset: 8
; Occupancy: 8
; WaveLimiterHint : 0
; COMPUTE_PGM_RSRC2:SCRATCH_EN: 0
; COMPUTE_PGM_RSRC2:USER_SGPR: 6
; COMPUTE_PGM_RSRC2:TRAP_HANDLER: 0
; COMPUTE_PGM_RSRC2:TGID_X_EN: 1
; COMPUTE_PGM_RSRC2:TGID_Y_EN: 0
; COMPUTE_PGM_RSRC2:TGID_Z_EN: 0
; COMPUTE_PGM_RSRC2:TIDIG_COMP_CNT: 0
; COMPUTE_PGM_RSRC3_GFX90A:ACCUM_OFFSET: 1
; COMPUTE_PGM_RSRC3_GFX90A:TG_SPLIT: 0
	.section	.text._Z20warp_exchange_kernelILj256ELj1ELj32EN6common18StripedToBlockedOpEnEvPT3_j,"axG",@progbits,_Z20warp_exchange_kernelILj256ELj1ELj32EN6common18StripedToBlockedOpEnEvPT3_j,comdat
	.protected	_Z20warp_exchange_kernelILj256ELj1ELj32EN6common18StripedToBlockedOpEnEvPT3_j ; -- Begin function _Z20warp_exchange_kernelILj256ELj1ELj32EN6common18StripedToBlockedOpEnEvPT3_j
	.globl	_Z20warp_exchange_kernelILj256ELj1ELj32EN6common18StripedToBlockedOpEnEvPT3_j
	.p2align	8
	.type	_Z20warp_exchange_kernelILj256ELj1ELj32EN6common18StripedToBlockedOpEnEvPT3_j,@function
_Z20warp_exchange_kernelILj256ELj1ELj32EN6common18StripedToBlockedOpEnEvPT3_j: ; @_Z20warp_exchange_kernelILj256ELj1ELj32EN6common18StripedToBlockedOpEnEvPT3_j
; %bb.0:
	s_load_dword s0, s[4:5], 0x8
	v_mov_b32_e32 v1, 0
	v_pk_mov_b32 v[4:5], 0, 0
	s_waitcnt lgkmcnt(0)
	s_cmp_eq_u32 s0, 0
	s_cbranch_scc1 .LBB41_3
; %bb.1:
	v_mbcnt_lo_u32_b32 v3, -1, 0
	v_mbcnt_hi_u32_b32 v3, -1, v3
	v_and_b32_e32 v3, 31, v3
	v_lshlrev_b32_e32 v2, 4, v0
	v_lshlrev_b32_e32 v3, 4, v3
	s_movk_i32 s1, 0xe00
	v_and_or_b32 v6, v2, s1, v3
	v_pk_mov_b32 v[2:3], v[0:1], v[0:1] op_sel:[0,1]
.LBB41_2:                               ; =>This Inner Loop Header: Depth=1
	s_waitcnt lgkmcnt(0)
	ds_write_b128 v6, v[2:5]
	; wave barrier
	ds_read_b128 v[2:5], v6
	s_add_i32 s0, s0, -1
	s_cmp_lg_u32 s0, 0
	; wave barrier
	s_cbranch_scc1 .LBB41_2
	s_branch .LBB41_4
.LBB41_3:
	v_pk_mov_b32 v[2:3], v[0:1], v[0:1] op_sel:[0,1]
.LBB41_4:
	s_load_dwordx2 s[0:1], s[4:5], 0x0
	v_lshl_or_b32 v0, s6, 8, v0
	v_mov_b32_e32 v1, 0
	v_lshlrev_b64 v[0:1], 4, v[0:1]
	s_waitcnt lgkmcnt(0)
	v_mov_b32_e32 v6, s1
	v_add_co_u32_e32 v0, vcc, s0, v0
	v_addc_co_u32_e32 v1, vcc, v6, v1, vcc
	global_store_dwordx4 v[0:1], v[2:5], off
	s_endpgm
	.section	.rodata,"a",@progbits
	.p2align	6, 0x0
	.amdhsa_kernel _Z20warp_exchange_kernelILj256ELj1ELj32EN6common18StripedToBlockedOpEnEvPT3_j
		.amdhsa_group_segment_fixed_size 4096
		.amdhsa_private_segment_fixed_size 0
		.amdhsa_kernarg_size 12
		.amdhsa_user_sgpr_count 6
		.amdhsa_user_sgpr_private_segment_buffer 1
		.amdhsa_user_sgpr_dispatch_ptr 0
		.amdhsa_user_sgpr_queue_ptr 0
		.amdhsa_user_sgpr_kernarg_segment_ptr 1
		.amdhsa_user_sgpr_dispatch_id 0
		.amdhsa_user_sgpr_flat_scratch_init 0
		.amdhsa_user_sgpr_kernarg_preload_length 0
		.amdhsa_user_sgpr_kernarg_preload_offset 0
		.amdhsa_user_sgpr_private_segment_size 0
		.amdhsa_uses_dynamic_stack 0
		.amdhsa_system_sgpr_private_segment_wavefront_offset 0
		.amdhsa_system_sgpr_workgroup_id_x 1
		.amdhsa_system_sgpr_workgroup_id_y 0
		.amdhsa_system_sgpr_workgroup_id_z 0
		.amdhsa_system_sgpr_workgroup_info 0
		.amdhsa_system_vgpr_workitem_id 0
		.amdhsa_next_free_vgpr 7
		.amdhsa_next_free_sgpr 7
		.amdhsa_accum_offset 8
		.amdhsa_reserve_vcc 1
		.amdhsa_reserve_flat_scratch 0
		.amdhsa_float_round_mode_32 0
		.amdhsa_float_round_mode_16_64 0
		.amdhsa_float_denorm_mode_32 3
		.amdhsa_float_denorm_mode_16_64 3
		.amdhsa_dx10_clamp 1
		.amdhsa_ieee_mode 1
		.amdhsa_fp16_overflow 0
		.amdhsa_tg_split 0
		.amdhsa_exception_fp_ieee_invalid_op 0
		.amdhsa_exception_fp_denorm_src 0
		.amdhsa_exception_fp_ieee_div_zero 0
		.amdhsa_exception_fp_ieee_overflow 0
		.amdhsa_exception_fp_ieee_underflow 0
		.amdhsa_exception_fp_ieee_inexact 0
		.amdhsa_exception_int_div_zero 0
	.end_amdhsa_kernel
	.section	.text._Z20warp_exchange_kernelILj256ELj1ELj32EN6common18StripedToBlockedOpEnEvPT3_j,"axG",@progbits,_Z20warp_exchange_kernelILj256ELj1ELj32EN6common18StripedToBlockedOpEnEvPT3_j,comdat
.Lfunc_end41:
	.size	_Z20warp_exchange_kernelILj256ELj1ELj32EN6common18StripedToBlockedOpEnEvPT3_j, .Lfunc_end41-_Z20warp_exchange_kernelILj256ELj1ELj32EN6common18StripedToBlockedOpEnEvPT3_j
                                        ; -- End function
	.section	.AMDGPU.csdata,"",@progbits
; Kernel info:
; codeLenInByte = 180
; NumSgprs: 11
; NumVgprs: 7
; NumAgprs: 0
; TotalNumVgprs: 7
; ScratchSize: 0
; MemoryBound: 0
; FloatMode: 240
; IeeeMode: 1
; LDSByteSize: 4096 bytes/workgroup (compile time only)
; SGPRBlocks: 1
; VGPRBlocks: 0
; NumSGPRsForWavesPerEU: 11
; NumVGPRsForWavesPerEU: 7
; AccumOffset: 8
; Occupancy: 8
; WaveLimiterHint : 0
; COMPUTE_PGM_RSRC2:SCRATCH_EN: 0
; COMPUTE_PGM_RSRC2:USER_SGPR: 6
; COMPUTE_PGM_RSRC2:TRAP_HANDLER: 0
; COMPUTE_PGM_RSRC2:TGID_X_EN: 1
; COMPUTE_PGM_RSRC2:TGID_Y_EN: 0
; COMPUTE_PGM_RSRC2:TGID_Z_EN: 0
; COMPUTE_PGM_RSRC2:TIDIG_COMP_CNT: 0
; COMPUTE_PGM_RSRC3_GFX90A:ACCUM_OFFSET: 1
; COMPUTE_PGM_RSRC3_GFX90A:TG_SPLIT: 0
	.section	.text._Z20warp_exchange_kernelILj256ELj4ELj16EN6common18StripedToBlockedOpEnEvPT3_j,"axG",@progbits,_Z20warp_exchange_kernelILj256ELj4ELj16EN6common18StripedToBlockedOpEnEvPT3_j,comdat
	.protected	_Z20warp_exchange_kernelILj256ELj4ELj16EN6common18StripedToBlockedOpEnEvPT3_j ; -- Begin function _Z20warp_exchange_kernelILj256ELj4ELj16EN6common18StripedToBlockedOpEnEvPT3_j
	.globl	_Z20warp_exchange_kernelILj256ELj4ELj16EN6common18StripedToBlockedOpEnEvPT3_j
	.p2align	8
	.type	_Z20warp_exchange_kernelILj256ELj4ELj16EN6common18StripedToBlockedOpEnEvPT3_j,@function
_Z20warp_exchange_kernelILj256ELj4ELj16EN6common18StripedToBlockedOpEnEvPT3_j: ; @_Z20warp_exchange_kernelILj256ELj4ELj16EN6common18StripedToBlockedOpEnEvPT3_j
; %bb.0:
	s_load_dword s0, s[4:5], 0x8
	v_lshlrev_b32_e32 v18, 2, v0
	v_or_b32_e32 v10, 1, v18
	v_or_b32_e32 v6, 2, v18
	;; [unrolled: 1-line block ×3, first 2 shown]
	s_waitcnt lgkmcnt(0)
	s_cmp_eq_u32 s0, 0
	s_cbranch_scc1 .LBB42_3
; %bb.1:
	v_mbcnt_lo_u32_b32 v1, -1, 0
	v_mbcnt_hi_u32_b32 v1, -1, v1
	v_and_b32_e32 v1, 15, v1
	v_mov_b32_e32 v3, 0
	v_lshlrev_b32_e32 v0, 6, v0
	v_lshlrev_b32_e32 v8, 4, v1
	s_movk_i32 s1, 0x3c00
	v_pk_mov_b32 v[4:5], 0, 0
	v_mov_b32_e32 v19, v3
	v_and_or_b32 v0, v0, s1, v8
	v_mul_u32_u24_e32 v1, 48, v1
	v_pk_mov_b32 v[16:17], 0, 0
	v_mov_b32_e32 v7, v3
	v_mov_b32_e32 v11, v3
	v_add_u32_e32 v1, v0, v1
	v_pk_mov_b32 v[8:9], v[4:5], v[4:5] op_sel:[0,1]
	v_pk_mov_b32 v[12:13], v[4:5], v[4:5] op_sel:[0,1]
	;; [unrolled: 1-line block ×3, first 2 shown]
.LBB42_2:                               ; =>This Inner Loop Header: Depth=1
	s_waitcnt lgkmcnt(3)
	ds_write_b128 v0, v[14:17]
	s_waitcnt lgkmcnt(3)
	ds_write_b128 v0, v[10:13] offset:256
	s_waitcnt lgkmcnt(3)
	ds_write_b128 v0, v[6:9] offset:512
	;; [unrolled: 2-line block ×3, first 2 shown]
	; wave barrier
	ds_read_b128 v[14:17], v1
	ds_read_b128 v[10:13], v1 offset:16
	ds_read_b128 v[6:9], v1 offset:32
	;; [unrolled: 1-line block ×3, first 2 shown]
	s_add_i32 s0, s0, -1
	s_cmp_lg_u32 s0, 0
	; wave barrier
	s_cbranch_scc1 .LBB42_2
	s_branch .LBB42_4
.LBB42_3:
	v_mov_b32_e32 v19, 0
	v_pk_mov_b32 v[16:17], 0, 0
	v_pk_mov_b32 v[4:5], 0, 0
	v_mov_b32_e32 v11, v19
	v_mov_b32_e32 v7, v19
	;; [unrolled: 1-line block ×3, first 2 shown]
	v_pk_mov_b32 v[14:15], v[18:19], v[18:19] op_sel:[0,1]
	v_pk_mov_b32 v[12:13], v[16:17], v[16:17] op_sel:[0,1]
	;; [unrolled: 1-line block ×3, first 2 shown]
.LBB42_4:
	s_load_dwordx2 s[0:1], s[4:5], 0x0
	v_lshl_or_b32 v0, s6, 10, v18
	v_mov_b32_e32 v1, 0
	v_lshlrev_b64 v[0:1], 4, v[0:1]
	s_waitcnt lgkmcnt(0)
	v_mov_b32_e32 v18, s1
	v_add_co_u32_e32 v0, vcc, s0, v0
	v_addc_co_u32_e32 v1, vcc, v18, v1, vcc
	global_store_dwordx4 v[0:1], v[14:17], off
	global_store_dwordx4 v[0:1], v[10:13], off offset:16
	global_store_dwordx4 v[0:1], v[6:9], off offset:32
	;; [unrolled: 1-line block ×3, first 2 shown]
	s_endpgm
	.section	.rodata,"a",@progbits
	.p2align	6, 0x0
	.amdhsa_kernel _Z20warp_exchange_kernelILj256ELj4ELj16EN6common18StripedToBlockedOpEnEvPT3_j
		.amdhsa_group_segment_fixed_size 16384
		.amdhsa_private_segment_fixed_size 0
		.amdhsa_kernarg_size 12
		.amdhsa_user_sgpr_count 6
		.amdhsa_user_sgpr_private_segment_buffer 1
		.amdhsa_user_sgpr_dispatch_ptr 0
		.amdhsa_user_sgpr_queue_ptr 0
		.amdhsa_user_sgpr_kernarg_segment_ptr 1
		.amdhsa_user_sgpr_dispatch_id 0
		.amdhsa_user_sgpr_flat_scratch_init 0
		.amdhsa_user_sgpr_kernarg_preload_length 0
		.amdhsa_user_sgpr_kernarg_preload_offset 0
		.amdhsa_user_sgpr_private_segment_size 0
		.amdhsa_uses_dynamic_stack 0
		.amdhsa_system_sgpr_private_segment_wavefront_offset 0
		.amdhsa_system_sgpr_workgroup_id_x 1
		.amdhsa_system_sgpr_workgroup_id_y 0
		.amdhsa_system_sgpr_workgroup_id_z 0
		.amdhsa_system_sgpr_workgroup_info 0
		.amdhsa_system_vgpr_workitem_id 0
		.amdhsa_next_free_vgpr 20
		.amdhsa_next_free_sgpr 7
		.amdhsa_accum_offset 20
		.amdhsa_reserve_vcc 1
		.amdhsa_reserve_flat_scratch 0
		.amdhsa_float_round_mode_32 0
		.amdhsa_float_round_mode_16_64 0
		.amdhsa_float_denorm_mode_32 3
		.amdhsa_float_denorm_mode_16_64 3
		.amdhsa_dx10_clamp 1
		.amdhsa_ieee_mode 1
		.amdhsa_fp16_overflow 0
		.amdhsa_tg_split 0
		.amdhsa_exception_fp_ieee_invalid_op 0
		.amdhsa_exception_fp_denorm_src 0
		.amdhsa_exception_fp_ieee_div_zero 0
		.amdhsa_exception_fp_ieee_overflow 0
		.amdhsa_exception_fp_ieee_underflow 0
		.amdhsa_exception_fp_ieee_inexact 0
		.amdhsa_exception_int_div_zero 0
	.end_amdhsa_kernel
	.section	.text._Z20warp_exchange_kernelILj256ELj4ELj16EN6common18StripedToBlockedOpEnEvPT3_j,"axG",@progbits,_Z20warp_exchange_kernelILj256ELj4ELj16EN6common18StripedToBlockedOpEnEvPT3_j,comdat
.Lfunc_end42:
	.size	_Z20warp_exchange_kernelILj256ELj4ELj16EN6common18StripedToBlockedOpEnEvPT3_j, .Lfunc_end42-_Z20warp_exchange_kernelILj256ELj4ELj16EN6common18StripedToBlockedOpEnEvPT3_j
                                        ; -- End function
	.section	.AMDGPU.csdata,"",@progbits
; Kernel info:
; codeLenInByte = 372
; NumSgprs: 11
; NumVgprs: 20
; NumAgprs: 0
; TotalNumVgprs: 20
; ScratchSize: 0
; MemoryBound: 0
; FloatMode: 240
; IeeeMode: 1
; LDSByteSize: 16384 bytes/workgroup (compile time only)
; SGPRBlocks: 1
; VGPRBlocks: 2
; NumSGPRsForWavesPerEU: 11
; NumVGPRsForWavesPerEU: 20
; AccumOffset: 20
; Occupancy: 4
; WaveLimiterHint : 0
; COMPUTE_PGM_RSRC2:SCRATCH_EN: 0
; COMPUTE_PGM_RSRC2:USER_SGPR: 6
; COMPUTE_PGM_RSRC2:TRAP_HANDLER: 0
; COMPUTE_PGM_RSRC2:TGID_X_EN: 1
; COMPUTE_PGM_RSRC2:TGID_Y_EN: 0
; COMPUTE_PGM_RSRC2:TGID_Z_EN: 0
; COMPUTE_PGM_RSRC2:TIDIG_COMP_CNT: 0
; COMPUTE_PGM_RSRC3_GFX90A:ACCUM_OFFSET: 4
; COMPUTE_PGM_RSRC3_GFX90A:TG_SPLIT: 0
	.section	.text._Z20warp_exchange_kernelILj256ELj4ELj32EN6common18StripedToBlockedOpEnEvPT3_j,"axG",@progbits,_Z20warp_exchange_kernelILj256ELj4ELj32EN6common18StripedToBlockedOpEnEvPT3_j,comdat
	.protected	_Z20warp_exchange_kernelILj256ELj4ELj32EN6common18StripedToBlockedOpEnEvPT3_j ; -- Begin function _Z20warp_exchange_kernelILj256ELj4ELj32EN6common18StripedToBlockedOpEnEvPT3_j
	.globl	_Z20warp_exchange_kernelILj256ELj4ELj32EN6common18StripedToBlockedOpEnEvPT3_j
	.p2align	8
	.type	_Z20warp_exchange_kernelILj256ELj4ELj32EN6common18StripedToBlockedOpEnEvPT3_j,@function
_Z20warp_exchange_kernelILj256ELj4ELj32EN6common18StripedToBlockedOpEnEvPT3_j: ; @_Z20warp_exchange_kernelILj256ELj4ELj32EN6common18StripedToBlockedOpEnEvPT3_j
; %bb.0:
	s_load_dword s0, s[4:5], 0x8
	v_lshlrev_b32_e32 v18, 2, v0
	v_or_b32_e32 v10, 1, v18
	v_or_b32_e32 v6, 2, v18
	;; [unrolled: 1-line block ×3, first 2 shown]
	s_waitcnt lgkmcnt(0)
	s_cmp_eq_u32 s0, 0
	s_cbranch_scc1 .LBB43_3
; %bb.1:
	v_mbcnt_lo_u32_b32 v1, -1, 0
	v_mbcnt_hi_u32_b32 v1, -1, v1
	v_and_b32_e32 v1, 31, v1
	v_mov_b32_e32 v3, 0
	v_lshlrev_b32_e32 v0, 6, v0
	v_lshlrev_b32_e32 v8, 4, v1
	s_movk_i32 s1, 0x3800
	v_pk_mov_b32 v[4:5], 0, 0
	v_mov_b32_e32 v19, v3
	v_and_or_b32 v0, v0, s1, v8
	v_mul_u32_u24_e32 v1, 48, v1
	v_pk_mov_b32 v[16:17], 0, 0
	v_mov_b32_e32 v7, v3
	v_mov_b32_e32 v11, v3
	v_add_u32_e32 v1, v0, v1
	v_pk_mov_b32 v[8:9], v[4:5], v[4:5] op_sel:[0,1]
	v_pk_mov_b32 v[12:13], v[4:5], v[4:5] op_sel:[0,1]
	v_pk_mov_b32 v[14:15], v[18:19], v[18:19] op_sel:[0,1]
.LBB43_2:                               ; =>This Inner Loop Header: Depth=1
	s_waitcnt lgkmcnt(3)
	ds_write_b128 v0, v[14:17]
	s_waitcnt lgkmcnt(3)
	ds_write_b128 v0, v[10:13] offset:512
	s_waitcnt lgkmcnt(3)
	ds_write_b128 v0, v[6:9] offset:1024
	;; [unrolled: 2-line block ×3, first 2 shown]
	; wave barrier
	ds_read_b128 v[14:17], v1
	ds_read_b128 v[10:13], v1 offset:16
	ds_read_b128 v[6:9], v1 offset:32
	;; [unrolled: 1-line block ×3, first 2 shown]
	s_add_i32 s0, s0, -1
	s_cmp_lg_u32 s0, 0
	; wave barrier
	s_cbranch_scc1 .LBB43_2
	s_branch .LBB43_4
.LBB43_3:
	v_mov_b32_e32 v19, 0
	v_pk_mov_b32 v[16:17], 0, 0
	v_pk_mov_b32 v[4:5], 0, 0
	v_mov_b32_e32 v11, v19
	v_mov_b32_e32 v7, v19
	;; [unrolled: 1-line block ×3, first 2 shown]
	v_pk_mov_b32 v[14:15], v[18:19], v[18:19] op_sel:[0,1]
	v_pk_mov_b32 v[12:13], v[16:17], v[16:17] op_sel:[0,1]
	;; [unrolled: 1-line block ×3, first 2 shown]
.LBB43_4:
	s_load_dwordx2 s[0:1], s[4:5], 0x0
	v_lshl_or_b32 v0, s6, 10, v18
	v_mov_b32_e32 v1, 0
	v_lshlrev_b64 v[0:1], 4, v[0:1]
	s_waitcnt lgkmcnt(0)
	v_mov_b32_e32 v18, s1
	v_add_co_u32_e32 v0, vcc, s0, v0
	v_addc_co_u32_e32 v1, vcc, v18, v1, vcc
	global_store_dwordx4 v[0:1], v[14:17], off
	global_store_dwordx4 v[0:1], v[10:13], off offset:16
	global_store_dwordx4 v[0:1], v[6:9], off offset:32
	;; [unrolled: 1-line block ×3, first 2 shown]
	s_endpgm
	.section	.rodata,"a",@progbits
	.p2align	6, 0x0
	.amdhsa_kernel _Z20warp_exchange_kernelILj256ELj4ELj32EN6common18StripedToBlockedOpEnEvPT3_j
		.amdhsa_group_segment_fixed_size 16384
		.amdhsa_private_segment_fixed_size 0
		.amdhsa_kernarg_size 12
		.amdhsa_user_sgpr_count 6
		.amdhsa_user_sgpr_private_segment_buffer 1
		.amdhsa_user_sgpr_dispatch_ptr 0
		.amdhsa_user_sgpr_queue_ptr 0
		.amdhsa_user_sgpr_kernarg_segment_ptr 1
		.amdhsa_user_sgpr_dispatch_id 0
		.amdhsa_user_sgpr_flat_scratch_init 0
		.amdhsa_user_sgpr_kernarg_preload_length 0
		.amdhsa_user_sgpr_kernarg_preload_offset 0
		.amdhsa_user_sgpr_private_segment_size 0
		.amdhsa_uses_dynamic_stack 0
		.amdhsa_system_sgpr_private_segment_wavefront_offset 0
		.amdhsa_system_sgpr_workgroup_id_x 1
		.amdhsa_system_sgpr_workgroup_id_y 0
		.amdhsa_system_sgpr_workgroup_id_z 0
		.amdhsa_system_sgpr_workgroup_info 0
		.amdhsa_system_vgpr_workitem_id 0
		.amdhsa_next_free_vgpr 20
		.amdhsa_next_free_sgpr 7
		.amdhsa_accum_offset 20
		.amdhsa_reserve_vcc 1
		.amdhsa_reserve_flat_scratch 0
		.amdhsa_float_round_mode_32 0
		.amdhsa_float_round_mode_16_64 0
		.amdhsa_float_denorm_mode_32 3
		.amdhsa_float_denorm_mode_16_64 3
		.amdhsa_dx10_clamp 1
		.amdhsa_ieee_mode 1
		.amdhsa_fp16_overflow 0
		.amdhsa_tg_split 0
		.amdhsa_exception_fp_ieee_invalid_op 0
		.amdhsa_exception_fp_denorm_src 0
		.amdhsa_exception_fp_ieee_div_zero 0
		.amdhsa_exception_fp_ieee_overflow 0
		.amdhsa_exception_fp_ieee_underflow 0
		.amdhsa_exception_fp_ieee_inexact 0
		.amdhsa_exception_int_div_zero 0
	.end_amdhsa_kernel
	.section	.text._Z20warp_exchange_kernelILj256ELj4ELj32EN6common18StripedToBlockedOpEnEvPT3_j,"axG",@progbits,_Z20warp_exchange_kernelILj256ELj4ELj32EN6common18StripedToBlockedOpEnEvPT3_j,comdat
.Lfunc_end43:
	.size	_Z20warp_exchange_kernelILj256ELj4ELj32EN6common18StripedToBlockedOpEnEvPT3_j, .Lfunc_end43-_Z20warp_exchange_kernelILj256ELj4ELj32EN6common18StripedToBlockedOpEnEvPT3_j
                                        ; -- End function
	.section	.AMDGPU.csdata,"",@progbits
; Kernel info:
; codeLenInByte = 372
; NumSgprs: 11
; NumVgprs: 20
; NumAgprs: 0
; TotalNumVgprs: 20
; ScratchSize: 0
; MemoryBound: 0
; FloatMode: 240
; IeeeMode: 1
; LDSByteSize: 16384 bytes/workgroup (compile time only)
; SGPRBlocks: 1
; VGPRBlocks: 2
; NumSGPRsForWavesPerEU: 11
; NumVGPRsForWavesPerEU: 20
; AccumOffset: 20
; Occupancy: 4
; WaveLimiterHint : 0
; COMPUTE_PGM_RSRC2:SCRATCH_EN: 0
; COMPUTE_PGM_RSRC2:USER_SGPR: 6
; COMPUTE_PGM_RSRC2:TRAP_HANDLER: 0
; COMPUTE_PGM_RSRC2:TGID_X_EN: 1
; COMPUTE_PGM_RSRC2:TGID_Y_EN: 0
; COMPUTE_PGM_RSRC2:TGID_Z_EN: 0
; COMPUTE_PGM_RSRC2:TIDIG_COMP_CNT: 0
; COMPUTE_PGM_RSRC3_GFX90A:ACCUM_OFFSET: 4
; COMPUTE_PGM_RSRC3_GFX90A:TG_SPLIT: 0
	.section	.text._Z20warp_exchange_kernelILj256ELj16ELj16EN6common18StripedToBlockedOpEnEvPT3_j,"axG",@progbits,_Z20warp_exchange_kernelILj256ELj16ELj16EN6common18StripedToBlockedOpEnEvPT3_j,comdat
	.protected	_Z20warp_exchange_kernelILj256ELj16ELj16EN6common18StripedToBlockedOpEnEvPT3_j ; -- Begin function _Z20warp_exchange_kernelILj256ELj16ELj16EN6common18StripedToBlockedOpEnEvPT3_j
	.globl	_Z20warp_exchange_kernelILj256ELj16ELj16EN6common18StripedToBlockedOpEnEvPT3_j
	.p2align	8
	.type	_Z20warp_exchange_kernelILj256ELj16ELj16EN6common18StripedToBlockedOpEnEvPT3_j,@function
_Z20warp_exchange_kernelILj256ELj16ELj16EN6common18StripedToBlockedOpEnEvPT3_j: ; @_Z20warp_exchange_kernelILj256ELj16ELj16EN6common18StripedToBlockedOpEnEvPT3_j
; %bb.0:
	s_load_dword s0, s[4:5], 0x8
	v_lshlrev_b32_e32 v66, 4, v0
	v_or_b32_e32 v58, 1, v66
	v_or_b32_e32 v46, 2, v66
	;; [unrolled: 1-line block ×14, first 2 shown]
	s_waitcnt lgkmcnt(0)
	s_cmp_eq_u32 s0, 0
	v_or_b32_e32 v2, 15, v66
	s_cbranch_scc1 .LBB44_3
; %bb.1:
	v_mbcnt_lo_u32_b32 v1, -1, 0
	v_mbcnt_hi_u32_b32 v1, -1, v1
	v_and_b32_e32 v1, 15, v1
	v_mov_b32_e32 v3, 0
	v_lshlrev_b32_e32 v0, 8, v0
	v_lshlrev_b32_e32 v8, 4, v1
	s_mov_b32 s1, 0xf000
	v_pk_mov_b32 v[4:5], 0, 0
	v_mov_b32_e32 v67, v3
	v_and_or_b32 v0, v0, s1, v8
	v_mul_u32_u24_e32 v1, 0xf0, v1
	v_pk_mov_b32 v[64:65], 0, 0
	v_mov_b32_e32 v7, v3
	v_mov_b32_e32 v11, v3
	;; [unrolled: 1-line block ×14, first 2 shown]
	v_add_u32_e32 v1, v0, v1
	v_pk_mov_b32 v[8:9], v[4:5], v[4:5] op_sel:[0,1]
	v_pk_mov_b32 v[12:13], v[4:5], v[4:5] op_sel:[0,1]
	;; [unrolled: 1-line block ×15, first 2 shown]
.LBB44_2:                               ; =>This Inner Loop Header: Depth=1
	s_waitcnt lgkmcnt(14)
	ds_write_b128 v0, v[62:65]
	ds_write_b128 v0, v[58:61] offset:256
	s_waitcnt lgkmcnt(14)
	ds_write_b128 v0, v[46:49] offset:512
	ds_write_b128 v0, v[34:37] offset:768
	s_waitcnt lgkmcnt(14)
	ds_write_b128 v0, v[54:57] offset:1024
	;; [unrolled: 3-line block ×7, first 2 shown]
	ds_write_b128 v0, v[2:5] offset:3840
	; wave barrier
	ds_read_b128 v[62:65], v1
	ds_read_b128 v[58:61], v1 offset:16
	ds_read_b128 v[46:49], v1 offset:32
	;; [unrolled: 1-line block ×15, first 2 shown]
	s_add_i32 s0, s0, -1
	s_cmp_lg_u32 s0, 0
	; wave barrier
	s_cbranch_scc1 .LBB44_2
	s_branch .LBB44_4
.LBB44_3:
	v_mov_b32_e32 v67, 0
	v_pk_mov_b32 v[64:65], 0, 0
	v_pk_mov_b32 v[4:5], 0, 0
	v_mov_b32_e32 v59, v67
	v_mov_b32_e32 v47, v67
	;; [unrolled: 1-line block ×15, first 2 shown]
	v_pk_mov_b32 v[62:63], v[66:67], v[66:67] op_sel:[0,1]
	v_pk_mov_b32 v[60:61], v[64:65], v[64:65] op_sel:[0,1]
	v_pk_mov_b32 v[48:49], v[64:65], v[64:65] op_sel:[0,1]
	v_pk_mov_b32 v[36:37], v[64:65], v[64:65] op_sel:[0,1]
	v_pk_mov_b32 v[56:57], v[64:65], v[64:65] op_sel:[0,1]
	v_pk_mov_b32 v[52:53], v[64:65], v[64:65] op_sel:[0,1]
	v_pk_mov_b32 v[44:45], v[64:65], v[64:65] op_sel:[0,1]
	v_pk_mov_b32 v[40:41], v[64:65], v[64:65] op_sel:[0,1]
	v_pk_mov_b32 v[32:33], v[64:65], v[64:65] op_sel:[0,1]
	v_pk_mov_b32 v[28:29], v[64:65], v[64:65] op_sel:[0,1]
	v_pk_mov_b32 v[24:25], v[64:65], v[64:65] op_sel:[0,1]
	v_pk_mov_b32 v[20:21], v[64:65], v[64:65] op_sel:[0,1]
	v_pk_mov_b32 v[16:17], v[64:65], v[64:65] op_sel:[0,1]
	v_pk_mov_b32 v[12:13], v[64:65], v[64:65] op_sel:[0,1]
	v_pk_mov_b32 v[8:9], v[64:65], v[64:65] op_sel:[0,1]
.LBB44_4:
	s_load_dwordx2 s[0:1], s[4:5], 0x0
	v_lshl_or_b32 v0, s6, 12, v66
	v_mov_b32_e32 v1, 0
	v_lshlrev_b64 v[0:1], 4, v[0:1]
	s_waitcnt lgkmcnt(0)
	v_mov_b32_e32 v66, s1
	v_add_co_u32_e32 v0, vcc, s0, v0
	v_addc_co_u32_e32 v1, vcc, v66, v1, vcc
	global_store_dwordx4 v[0:1], v[62:65], off
	global_store_dwordx4 v[0:1], v[58:61], off offset:16
	global_store_dwordx4 v[0:1], v[46:49], off offset:32
	global_store_dwordx4 v[0:1], v[34:37], off offset:48
	global_store_dwordx4 v[0:1], v[54:57], off offset:64
	global_store_dwordx4 v[0:1], v[50:53], off offset:80
	global_store_dwordx4 v[0:1], v[42:45], off offset:96
	global_store_dwordx4 v[0:1], v[38:41], off offset:112
	global_store_dwordx4 v[0:1], v[30:33], off offset:128
	global_store_dwordx4 v[0:1], v[26:29], off offset:144
	global_store_dwordx4 v[0:1], v[22:25], off offset:160
	global_store_dwordx4 v[0:1], v[18:21], off offset:176
	global_store_dwordx4 v[0:1], v[14:17], off offset:192
	global_store_dwordx4 v[0:1], v[10:13], off offset:208
	global_store_dwordx4 v[0:1], v[6:9], off offset:224
	global_store_dwordx4 v[0:1], v[2:5], off offset:240
	s_endpgm
	.section	.rodata,"a",@progbits
	.p2align	6, 0x0
	.amdhsa_kernel _Z20warp_exchange_kernelILj256ELj16ELj16EN6common18StripedToBlockedOpEnEvPT3_j
		.amdhsa_group_segment_fixed_size 65536
		.amdhsa_private_segment_fixed_size 0
		.amdhsa_kernarg_size 12
		.amdhsa_user_sgpr_count 6
		.amdhsa_user_sgpr_private_segment_buffer 1
		.amdhsa_user_sgpr_dispatch_ptr 0
		.amdhsa_user_sgpr_queue_ptr 0
		.amdhsa_user_sgpr_kernarg_segment_ptr 1
		.amdhsa_user_sgpr_dispatch_id 0
		.amdhsa_user_sgpr_flat_scratch_init 0
		.amdhsa_user_sgpr_kernarg_preload_length 0
		.amdhsa_user_sgpr_kernarg_preload_offset 0
		.amdhsa_user_sgpr_private_segment_size 0
		.amdhsa_uses_dynamic_stack 0
		.amdhsa_system_sgpr_private_segment_wavefront_offset 0
		.amdhsa_system_sgpr_workgroup_id_x 1
		.amdhsa_system_sgpr_workgroup_id_y 0
		.amdhsa_system_sgpr_workgroup_id_z 0
		.amdhsa_system_sgpr_workgroup_info 0
		.amdhsa_system_vgpr_workitem_id 0
		.amdhsa_next_free_vgpr 68
		.amdhsa_next_free_sgpr 7
		.amdhsa_accum_offset 68
		.amdhsa_reserve_vcc 1
		.amdhsa_reserve_flat_scratch 0
		.amdhsa_float_round_mode_32 0
		.amdhsa_float_round_mode_16_64 0
		.amdhsa_float_denorm_mode_32 3
		.amdhsa_float_denorm_mode_16_64 3
		.amdhsa_dx10_clamp 1
		.amdhsa_ieee_mode 1
		.amdhsa_fp16_overflow 0
		.amdhsa_tg_split 0
		.amdhsa_exception_fp_ieee_invalid_op 0
		.amdhsa_exception_fp_denorm_src 0
		.amdhsa_exception_fp_ieee_div_zero 0
		.amdhsa_exception_fp_ieee_overflow 0
		.amdhsa_exception_fp_ieee_underflow 0
		.amdhsa_exception_fp_ieee_inexact 0
		.amdhsa_exception_int_div_zero 0
	.end_amdhsa_kernel
	.section	.text._Z20warp_exchange_kernelILj256ELj16ELj16EN6common18StripedToBlockedOpEnEvPT3_j,"axG",@progbits,_Z20warp_exchange_kernelILj256ELj16ELj16EN6common18StripedToBlockedOpEnEvPT3_j,comdat
.Lfunc_end44:
	.size	_Z20warp_exchange_kernelILj256ELj16ELj16EN6common18StripedToBlockedOpEnEvPT3_j, .Lfunc_end44-_Z20warp_exchange_kernelILj256ELj16ELj16EN6common18StripedToBlockedOpEnEvPT3_j
                                        ; -- End function
	.section	.AMDGPU.csdata,"",@progbits
; Kernel info:
; codeLenInByte = 1020
; NumSgprs: 11
; NumVgprs: 68
; NumAgprs: 0
; TotalNumVgprs: 68
; ScratchSize: 0
; MemoryBound: 1
; FloatMode: 240
; IeeeMode: 1
; LDSByteSize: 65536 bytes/workgroup (compile time only)
; SGPRBlocks: 1
; VGPRBlocks: 8
; NumSGPRsForWavesPerEU: 11
; NumVGPRsForWavesPerEU: 68
; AccumOffset: 68
; Occupancy: 1
; WaveLimiterHint : 1
; COMPUTE_PGM_RSRC2:SCRATCH_EN: 0
; COMPUTE_PGM_RSRC2:USER_SGPR: 6
; COMPUTE_PGM_RSRC2:TRAP_HANDLER: 0
; COMPUTE_PGM_RSRC2:TGID_X_EN: 1
; COMPUTE_PGM_RSRC2:TGID_Y_EN: 0
; COMPUTE_PGM_RSRC2:TGID_Z_EN: 0
; COMPUTE_PGM_RSRC2:TIDIG_COMP_CNT: 0
; COMPUTE_PGM_RSRC3_GFX90A:ACCUM_OFFSET: 16
; COMPUTE_PGM_RSRC3_GFX90A:TG_SPLIT: 0
	.section	.text._Z20warp_exchange_kernelILj256ELj16ELj32EN6common18StripedToBlockedOpEnEvPT3_j,"axG",@progbits,_Z20warp_exchange_kernelILj256ELj16ELj32EN6common18StripedToBlockedOpEnEvPT3_j,comdat
	.protected	_Z20warp_exchange_kernelILj256ELj16ELj32EN6common18StripedToBlockedOpEnEvPT3_j ; -- Begin function _Z20warp_exchange_kernelILj256ELj16ELj32EN6common18StripedToBlockedOpEnEvPT3_j
	.globl	_Z20warp_exchange_kernelILj256ELj16ELj32EN6common18StripedToBlockedOpEnEvPT3_j
	.p2align	8
	.type	_Z20warp_exchange_kernelILj256ELj16ELj32EN6common18StripedToBlockedOpEnEvPT3_j,@function
_Z20warp_exchange_kernelILj256ELj16ELj32EN6common18StripedToBlockedOpEnEvPT3_j: ; @_Z20warp_exchange_kernelILj256ELj16ELj32EN6common18StripedToBlockedOpEnEvPT3_j
; %bb.0:
	s_load_dword s0, s[4:5], 0x8
	v_lshlrev_b32_e32 v66, 4, v0
	v_or_b32_e32 v58, 1, v66
	v_or_b32_e32 v46, 2, v66
	;; [unrolled: 1-line block ×14, first 2 shown]
	s_waitcnt lgkmcnt(0)
	s_cmp_eq_u32 s0, 0
	v_or_b32_e32 v2, 15, v66
	s_cbranch_scc1 .LBB45_3
; %bb.1:
	v_mbcnt_lo_u32_b32 v1, -1, 0
	v_mbcnt_hi_u32_b32 v1, -1, v1
	v_and_b32_e32 v1, 31, v1
	v_mov_b32_e32 v3, 0
	v_lshlrev_b32_e32 v0, 8, v0
	v_lshlrev_b32_e32 v8, 4, v1
	s_mov_b32 s1, 0xe000
	v_pk_mov_b32 v[4:5], 0, 0
	v_mov_b32_e32 v67, v3
	v_and_or_b32 v0, v0, s1, v8
	v_mul_u32_u24_e32 v1, 0xf0, v1
	v_pk_mov_b32 v[64:65], 0, 0
	v_mov_b32_e32 v7, v3
	v_mov_b32_e32 v11, v3
	;; [unrolled: 1-line block ×14, first 2 shown]
	v_add_u32_e32 v1, v0, v1
	v_pk_mov_b32 v[8:9], v[4:5], v[4:5] op_sel:[0,1]
	v_pk_mov_b32 v[12:13], v[4:5], v[4:5] op_sel:[0,1]
	;; [unrolled: 1-line block ×15, first 2 shown]
.LBB45_2:                               ; =>This Inner Loop Header: Depth=1
	s_waitcnt lgkmcnt(14)
	ds_write_b128 v0, v[62:65]
	ds_write_b128 v0, v[58:61] offset:512
	s_waitcnt lgkmcnt(14)
	ds_write_b128 v0, v[46:49] offset:1024
	ds_write_b128 v0, v[34:37] offset:1536
	s_waitcnt lgkmcnt(14)
	ds_write_b128 v0, v[54:57] offset:2048
	;; [unrolled: 3-line block ×7, first 2 shown]
	ds_write_b128 v0, v[2:5] offset:7680
	; wave barrier
	ds_read_b128 v[62:65], v1
	ds_read_b128 v[58:61], v1 offset:16
	ds_read_b128 v[46:49], v1 offset:32
	;; [unrolled: 1-line block ×15, first 2 shown]
	s_add_i32 s0, s0, -1
	s_cmp_lg_u32 s0, 0
	; wave barrier
	s_cbranch_scc1 .LBB45_2
	s_branch .LBB45_4
.LBB45_3:
	v_mov_b32_e32 v67, 0
	v_pk_mov_b32 v[64:65], 0, 0
	v_pk_mov_b32 v[4:5], 0, 0
	v_mov_b32_e32 v59, v67
	v_mov_b32_e32 v47, v67
	;; [unrolled: 1-line block ×15, first 2 shown]
	v_pk_mov_b32 v[62:63], v[66:67], v[66:67] op_sel:[0,1]
	v_pk_mov_b32 v[60:61], v[64:65], v[64:65] op_sel:[0,1]
	;; [unrolled: 1-line block ×15, first 2 shown]
.LBB45_4:
	s_load_dwordx2 s[0:1], s[4:5], 0x0
	v_lshl_or_b32 v0, s6, 12, v66
	v_mov_b32_e32 v1, 0
	v_lshlrev_b64 v[0:1], 4, v[0:1]
	s_waitcnt lgkmcnt(0)
	v_mov_b32_e32 v66, s1
	v_add_co_u32_e32 v0, vcc, s0, v0
	v_addc_co_u32_e32 v1, vcc, v66, v1, vcc
	global_store_dwordx4 v[0:1], v[62:65], off
	global_store_dwordx4 v[0:1], v[58:61], off offset:16
	global_store_dwordx4 v[0:1], v[46:49], off offset:32
	;; [unrolled: 1-line block ×15, first 2 shown]
	s_endpgm
	.section	.rodata,"a",@progbits
	.p2align	6, 0x0
	.amdhsa_kernel _Z20warp_exchange_kernelILj256ELj16ELj32EN6common18StripedToBlockedOpEnEvPT3_j
		.amdhsa_group_segment_fixed_size 65536
		.amdhsa_private_segment_fixed_size 0
		.amdhsa_kernarg_size 12
		.amdhsa_user_sgpr_count 6
		.amdhsa_user_sgpr_private_segment_buffer 1
		.amdhsa_user_sgpr_dispatch_ptr 0
		.amdhsa_user_sgpr_queue_ptr 0
		.amdhsa_user_sgpr_kernarg_segment_ptr 1
		.amdhsa_user_sgpr_dispatch_id 0
		.amdhsa_user_sgpr_flat_scratch_init 0
		.amdhsa_user_sgpr_kernarg_preload_length 0
		.amdhsa_user_sgpr_kernarg_preload_offset 0
		.amdhsa_user_sgpr_private_segment_size 0
		.amdhsa_uses_dynamic_stack 0
		.amdhsa_system_sgpr_private_segment_wavefront_offset 0
		.amdhsa_system_sgpr_workgroup_id_x 1
		.amdhsa_system_sgpr_workgroup_id_y 0
		.amdhsa_system_sgpr_workgroup_id_z 0
		.amdhsa_system_sgpr_workgroup_info 0
		.amdhsa_system_vgpr_workitem_id 0
		.amdhsa_next_free_vgpr 68
		.amdhsa_next_free_sgpr 7
		.amdhsa_accum_offset 68
		.amdhsa_reserve_vcc 1
		.amdhsa_reserve_flat_scratch 0
		.amdhsa_float_round_mode_32 0
		.amdhsa_float_round_mode_16_64 0
		.amdhsa_float_denorm_mode_32 3
		.amdhsa_float_denorm_mode_16_64 3
		.amdhsa_dx10_clamp 1
		.amdhsa_ieee_mode 1
		.amdhsa_fp16_overflow 0
		.amdhsa_tg_split 0
		.amdhsa_exception_fp_ieee_invalid_op 0
		.amdhsa_exception_fp_denorm_src 0
		.amdhsa_exception_fp_ieee_div_zero 0
		.amdhsa_exception_fp_ieee_overflow 0
		.amdhsa_exception_fp_ieee_underflow 0
		.amdhsa_exception_fp_ieee_inexact 0
		.amdhsa_exception_int_div_zero 0
	.end_amdhsa_kernel
	.section	.text._Z20warp_exchange_kernelILj256ELj16ELj32EN6common18StripedToBlockedOpEnEvPT3_j,"axG",@progbits,_Z20warp_exchange_kernelILj256ELj16ELj32EN6common18StripedToBlockedOpEnEvPT3_j,comdat
.Lfunc_end45:
	.size	_Z20warp_exchange_kernelILj256ELj16ELj32EN6common18StripedToBlockedOpEnEvPT3_j, .Lfunc_end45-_Z20warp_exchange_kernelILj256ELj16ELj32EN6common18StripedToBlockedOpEnEvPT3_j
                                        ; -- End function
	.section	.AMDGPU.csdata,"",@progbits
; Kernel info:
; codeLenInByte = 1020
; NumSgprs: 11
; NumVgprs: 68
; NumAgprs: 0
; TotalNumVgprs: 68
; ScratchSize: 0
; MemoryBound: 1
; FloatMode: 240
; IeeeMode: 1
; LDSByteSize: 65536 bytes/workgroup (compile time only)
; SGPRBlocks: 1
; VGPRBlocks: 8
; NumSGPRsForWavesPerEU: 11
; NumVGPRsForWavesPerEU: 68
; AccumOffset: 68
; Occupancy: 1
; WaveLimiterHint : 1
; COMPUTE_PGM_RSRC2:SCRATCH_EN: 0
; COMPUTE_PGM_RSRC2:USER_SGPR: 6
; COMPUTE_PGM_RSRC2:TRAP_HANDLER: 0
; COMPUTE_PGM_RSRC2:TGID_X_EN: 1
; COMPUTE_PGM_RSRC2:TGID_Y_EN: 0
; COMPUTE_PGM_RSRC2:TGID_Z_EN: 0
; COMPUTE_PGM_RSRC2:TIDIG_COMP_CNT: 0
; COMPUTE_PGM_RSRC3_GFX90A:ACCUM_OFFSET: 16
; COMPUTE_PGM_RSRC3_GFX90A:TG_SPLIT: 0
	.section	.text._Z20warp_exchange_kernelILj256ELj1ELj16EN6common25BlockedToStripedShuffleOpEnEvPT3_j,"axG",@progbits,_Z20warp_exchange_kernelILj256ELj1ELj16EN6common25BlockedToStripedShuffleOpEnEvPT3_j,comdat
	.protected	_Z20warp_exchange_kernelILj256ELj1ELj16EN6common25BlockedToStripedShuffleOpEnEvPT3_j ; -- Begin function _Z20warp_exchange_kernelILj256ELj1ELj16EN6common25BlockedToStripedShuffleOpEnEvPT3_j
	.globl	_Z20warp_exchange_kernelILj256ELj1ELj16EN6common25BlockedToStripedShuffleOpEnEvPT3_j
	.p2align	8
	.type	_Z20warp_exchange_kernelILj256ELj1ELj16EN6common25BlockedToStripedShuffleOpEnEvPT3_j,@function
_Z20warp_exchange_kernelILj256ELj1ELj16EN6common25BlockedToStripedShuffleOpEnEvPT3_j: ; @_Z20warp_exchange_kernelILj256ELj1ELj16EN6common25BlockedToStripedShuffleOpEnEvPT3_j
; %bb.0:
	s_load_dword s0, s[4:5], 0x8
	v_mov_b32_e32 v5, 0
	s_waitcnt lgkmcnt(0)
	s_cmp_eq_u32 s0, 0
	s_cbranch_scc1 .LBB46_3
; %bb.1:
	v_mbcnt_lo_u32_b32 v1, -1, 0
	v_mbcnt_hi_u32_b32 v1, -1, v1
	v_lshlrev_b32_e32 v1, 2, v1
	v_mov_b32_e32 v2, v0
	v_mov_b32_e32 v3, 0
	;; [unrolled: 1-line block ×3, first 2 shown]
.LBB46_2:                               ; =>This Inner Loop Header: Depth=1
	s_waitcnt lgkmcnt(3)
	ds_bpermute_b32 v2, v1, v2
	s_waitcnt lgkmcnt(3)
	ds_bpermute_b32 v3, v1, v3
	s_waitcnt lgkmcnt(3)
	ds_bpermute_b32 v4, v1, v4
	s_waitcnt lgkmcnt(3)
	ds_bpermute_b32 v5, v1, v5
	s_add_i32 s0, s0, -1
	s_cmp_lg_u32 s0, 0
	; wave barrier
	s_cbranch_scc1 .LBB46_2
	s_branch .LBB46_4
.LBB46_3:
	v_mov_b32_e32 v2, v0
	v_mov_b32_e32 v3, 0
	;; [unrolled: 1-line block ×3, first 2 shown]
.LBB46_4:
	s_load_dwordx2 s[0:1], s[4:5], 0x0
	v_lshl_or_b32 v0, s6, 8, v0
	v_mov_b32_e32 v1, 0
	v_lshlrev_b64 v[0:1], 4, v[0:1]
	s_waitcnt lgkmcnt(0)
	v_mov_b32_e32 v6, s1
	v_add_co_u32_e32 v0, vcc, s0, v0
	v_addc_co_u32_e32 v1, vcc, v6, v1, vcc
	global_store_dwordx4 v[0:1], v[2:5], off
	s_endpgm
	.section	.rodata,"a",@progbits
	.p2align	6, 0x0
	.amdhsa_kernel _Z20warp_exchange_kernelILj256ELj1ELj16EN6common25BlockedToStripedShuffleOpEnEvPT3_j
		.amdhsa_group_segment_fixed_size 0
		.amdhsa_private_segment_fixed_size 0
		.amdhsa_kernarg_size 12
		.amdhsa_user_sgpr_count 6
		.amdhsa_user_sgpr_private_segment_buffer 1
		.amdhsa_user_sgpr_dispatch_ptr 0
		.amdhsa_user_sgpr_queue_ptr 0
		.amdhsa_user_sgpr_kernarg_segment_ptr 1
		.amdhsa_user_sgpr_dispatch_id 0
		.amdhsa_user_sgpr_flat_scratch_init 0
		.amdhsa_user_sgpr_kernarg_preload_length 0
		.amdhsa_user_sgpr_kernarg_preload_offset 0
		.amdhsa_user_sgpr_private_segment_size 0
		.amdhsa_uses_dynamic_stack 0
		.amdhsa_system_sgpr_private_segment_wavefront_offset 0
		.amdhsa_system_sgpr_workgroup_id_x 1
		.amdhsa_system_sgpr_workgroup_id_y 0
		.amdhsa_system_sgpr_workgroup_id_z 0
		.amdhsa_system_sgpr_workgroup_info 0
		.amdhsa_system_vgpr_workitem_id 0
		.amdhsa_next_free_vgpr 7
		.amdhsa_next_free_sgpr 7
		.amdhsa_accum_offset 8
		.amdhsa_reserve_vcc 1
		.amdhsa_reserve_flat_scratch 0
		.amdhsa_float_round_mode_32 0
		.amdhsa_float_round_mode_16_64 0
		.amdhsa_float_denorm_mode_32 3
		.amdhsa_float_denorm_mode_16_64 3
		.amdhsa_dx10_clamp 1
		.amdhsa_ieee_mode 1
		.amdhsa_fp16_overflow 0
		.amdhsa_tg_split 0
		.amdhsa_exception_fp_ieee_invalid_op 0
		.amdhsa_exception_fp_denorm_src 0
		.amdhsa_exception_fp_ieee_div_zero 0
		.amdhsa_exception_fp_ieee_overflow 0
		.amdhsa_exception_fp_ieee_underflow 0
		.amdhsa_exception_fp_ieee_inexact 0
		.amdhsa_exception_int_div_zero 0
	.end_amdhsa_kernel
	.section	.text._Z20warp_exchange_kernelILj256ELj1ELj16EN6common25BlockedToStripedShuffleOpEnEvPT3_j,"axG",@progbits,_Z20warp_exchange_kernelILj256ELj1ELj16EN6common25BlockedToStripedShuffleOpEnEvPT3_j,comdat
.Lfunc_end46:
	.size	_Z20warp_exchange_kernelILj256ELj1ELj16EN6common25BlockedToStripedShuffleOpEnEvPT3_j, .Lfunc_end46-_Z20warp_exchange_kernelILj256ELj1ELj16EN6common25BlockedToStripedShuffleOpEnEvPT3_j
                                        ; -- End function
	.section	.AMDGPU.csdata,"",@progbits
; Kernel info:
; codeLenInByte = 188
; NumSgprs: 11
; NumVgprs: 7
; NumAgprs: 0
; TotalNumVgprs: 7
; ScratchSize: 0
; MemoryBound: 0
; FloatMode: 240
; IeeeMode: 1
; LDSByteSize: 0 bytes/workgroup (compile time only)
; SGPRBlocks: 1
; VGPRBlocks: 0
; NumSGPRsForWavesPerEU: 11
; NumVGPRsForWavesPerEU: 7
; AccumOffset: 8
; Occupancy: 8
; WaveLimiterHint : 0
; COMPUTE_PGM_RSRC2:SCRATCH_EN: 0
; COMPUTE_PGM_RSRC2:USER_SGPR: 6
; COMPUTE_PGM_RSRC2:TRAP_HANDLER: 0
; COMPUTE_PGM_RSRC2:TGID_X_EN: 1
; COMPUTE_PGM_RSRC2:TGID_Y_EN: 0
; COMPUTE_PGM_RSRC2:TGID_Z_EN: 0
; COMPUTE_PGM_RSRC2:TIDIG_COMP_CNT: 0
; COMPUTE_PGM_RSRC3_GFX90A:ACCUM_OFFSET: 1
; COMPUTE_PGM_RSRC3_GFX90A:TG_SPLIT: 0
	.section	.text._Z20warp_exchange_kernelILj256ELj1ELj32EN6common25BlockedToStripedShuffleOpEnEvPT3_j,"axG",@progbits,_Z20warp_exchange_kernelILj256ELj1ELj32EN6common25BlockedToStripedShuffleOpEnEvPT3_j,comdat
	.protected	_Z20warp_exchange_kernelILj256ELj1ELj32EN6common25BlockedToStripedShuffleOpEnEvPT3_j ; -- Begin function _Z20warp_exchange_kernelILj256ELj1ELj32EN6common25BlockedToStripedShuffleOpEnEvPT3_j
	.globl	_Z20warp_exchange_kernelILj256ELj1ELj32EN6common25BlockedToStripedShuffleOpEnEvPT3_j
	.p2align	8
	.type	_Z20warp_exchange_kernelILj256ELj1ELj32EN6common25BlockedToStripedShuffleOpEnEvPT3_j,@function
_Z20warp_exchange_kernelILj256ELj1ELj32EN6common25BlockedToStripedShuffleOpEnEvPT3_j: ; @_Z20warp_exchange_kernelILj256ELj1ELj32EN6common25BlockedToStripedShuffleOpEnEvPT3_j
; %bb.0:
	s_load_dword s0, s[4:5], 0x8
	v_mov_b32_e32 v5, 0
	s_waitcnt lgkmcnt(0)
	s_cmp_eq_u32 s0, 0
	s_cbranch_scc1 .LBB47_3
; %bb.1:
	v_mbcnt_lo_u32_b32 v1, -1, 0
	v_mbcnt_hi_u32_b32 v1, -1, v1
	v_lshlrev_b32_e32 v1, 2, v1
	v_mov_b32_e32 v2, v0
	v_mov_b32_e32 v3, 0
	;; [unrolled: 1-line block ×3, first 2 shown]
.LBB47_2:                               ; =>This Inner Loop Header: Depth=1
	s_waitcnt lgkmcnt(3)
	ds_bpermute_b32 v2, v1, v2
	s_waitcnt lgkmcnt(3)
	ds_bpermute_b32 v3, v1, v3
	;; [unrolled: 2-line block ×4, first 2 shown]
	s_add_i32 s0, s0, -1
	s_cmp_lg_u32 s0, 0
	; wave barrier
	s_cbranch_scc1 .LBB47_2
	s_branch .LBB47_4
.LBB47_3:
	v_mov_b32_e32 v2, v0
	v_mov_b32_e32 v3, 0
	;; [unrolled: 1-line block ×3, first 2 shown]
.LBB47_4:
	s_load_dwordx2 s[0:1], s[4:5], 0x0
	v_lshl_or_b32 v0, s6, 8, v0
	v_mov_b32_e32 v1, 0
	v_lshlrev_b64 v[0:1], 4, v[0:1]
	s_waitcnt lgkmcnt(0)
	v_mov_b32_e32 v6, s1
	v_add_co_u32_e32 v0, vcc, s0, v0
	v_addc_co_u32_e32 v1, vcc, v6, v1, vcc
	global_store_dwordx4 v[0:1], v[2:5], off
	s_endpgm
	.section	.rodata,"a",@progbits
	.p2align	6, 0x0
	.amdhsa_kernel _Z20warp_exchange_kernelILj256ELj1ELj32EN6common25BlockedToStripedShuffleOpEnEvPT3_j
		.amdhsa_group_segment_fixed_size 0
		.amdhsa_private_segment_fixed_size 0
		.amdhsa_kernarg_size 12
		.amdhsa_user_sgpr_count 6
		.amdhsa_user_sgpr_private_segment_buffer 1
		.amdhsa_user_sgpr_dispatch_ptr 0
		.amdhsa_user_sgpr_queue_ptr 0
		.amdhsa_user_sgpr_kernarg_segment_ptr 1
		.amdhsa_user_sgpr_dispatch_id 0
		.amdhsa_user_sgpr_flat_scratch_init 0
		.amdhsa_user_sgpr_kernarg_preload_length 0
		.amdhsa_user_sgpr_kernarg_preload_offset 0
		.amdhsa_user_sgpr_private_segment_size 0
		.amdhsa_uses_dynamic_stack 0
		.amdhsa_system_sgpr_private_segment_wavefront_offset 0
		.amdhsa_system_sgpr_workgroup_id_x 1
		.amdhsa_system_sgpr_workgroup_id_y 0
		.amdhsa_system_sgpr_workgroup_id_z 0
		.amdhsa_system_sgpr_workgroup_info 0
		.amdhsa_system_vgpr_workitem_id 0
		.amdhsa_next_free_vgpr 7
		.amdhsa_next_free_sgpr 7
		.amdhsa_accum_offset 8
		.amdhsa_reserve_vcc 1
		.amdhsa_reserve_flat_scratch 0
		.amdhsa_float_round_mode_32 0
		.amdhsa_float_round_mode_16_64 0
		.amdhsa_float_denorm_mode_32 3
		.amdhsa_float_denorm_mode_16_64 3
		.amdhsa_dx10_clamp 1
		.amdhsa_ieee_mode 1
		.amdhsa_fp16_overflow 0
		.amdhsa_tg_split 0
		.amdhsa_exception_fp_ieee_invalid_op 0
		.amdhsa_exception_fp_denorm_src 0
		.amdhsa_exception_fp_ieee_div_zero 0
		.amdhsa_exception_fp_ieee_overflow 0
		.amdhsa_exception_fp_ieee_underflow 0
		.amdhsa_exception_fp_ieee_inexact 0
		.amdhsa_exception_int_div_zero 0
	.end_amdhsa_kernel
	.section	.text._Z20warp_exchange_kernelILj256ELj1ELj32EN6common25BlockedToStripedShuffleOpEnEvPT3_j,"axG",@progbits,_Z20warp_exchange_kernelILj256ELj1ELj32EN6common25BlockedToStripedShuffleOpEnEvPT3_j,comdat
.Lfunc_end47:
	.size	_Z20warp_exchange_kernelILj256ELj1ELj32EN6common25BlockedToStripedShuffleOpEnEvPT3_j, .Lfunc_end47-_Z20warp_exchange_kernelILj256ELj1ELj32EN6common25BlockedToStripedShuffleOpEnEvPT3_j
                                        ; -- End function
	.section	.AMDGPU.csdata,"",@progbits
; Kernel info:
; codeLenInByte = 188
; NumSgprs: 11
; NumVgprs: 7
; NumAgprs: 0
; TotalNumVgprs: 7
; ScratchSize: 0
; MemoryBound: 0
; FloatMode: 240
; IeeeMode: 1
; LDSByteSize: 0 bytes/workgroup (compile time only)
; SGPRBlocks: 1
; VGPRBlocks: 0
; NumSGPRsForWavesPerEU: 11
; NumVGPRsForWavesPerEU: 7
; AccumOffset: 8
; Occupancy: 8
; WaveLimiterHint : 0
; COMPUTE_PGM_RSRC2:SCRATCH_EN: 0
; COMPUTE_PGM_RSRC2:USER_SGPR: 6
; COMPUTE_PGM_RSRC2:TRAP_HANDLER: 0
; COMPUTE_PGM_RSRC2:TGID_X_EN: 1
; COMPUTE_PGM_RSRC2:TGID_Y_EN: 0
; COMPUTE_PGM_RSRC2:TGID_Z_EN: 0
; COMPUTE_PGM_RSRC2:TIDIG_COMP_CNT: 0
; COMPUTE_PGM_RSRC3_GFX90A:ACCUM_OFFSET: 1
; COMPUTE_PGM_RSRC3_GFX90A:TG_SPLIT: 0
	.section	.text._Z20warp_exchange_kernelILj256ELj4ELj16EN6common25BlockedToStripedShuffleOpEnEvPT3_j,"axG",@progbits,_Z20warp_exchange_kernelILj256ELj4ELj16EN6common25BlockedToStripedShuffleOpEnEvPT3_j,comdat
	.protected	_Z20warp_exchange_kernelILj256ELj4ELj16EN6common25BlockedToStripedShuffleOpEnEvPT3_j ; -- Begin function _Z20warp_exchange_kernelILj256ELj4ELj16EN6common25BlockedToStripedShuffleOpEnEvPT3_j
	.globl	_Z20warp_exchange_kernelILj256ELj4ELj16EN6common25BlockedToStripedShuffleOpEnEvPT3_j
	.p2align	8
	.type	_Z20warp_exchange_kernelILj256ELj4ELj16EN6common25BlockedToStripedShuffleOpEnEvPT3_j,@function
_Z20warp_exchange_kernelILj256ELj4ELj16EN6common25BlockedToStripedShuffleOpEnEvPT3_j: ; @_Z20warp_exchange_kernelILj256ELj4ELj16EN6common25BlockedToStripedShuffleOpEnEvPT3_j
; %bb.0:
	s_load_dword s7, s[4:5], 0x8
	v_lshlrev_b32_e32 v16, 2, v0
	v_or_b32_e32 v12, 1, v16
	v_or_b32_e32 v8, 2, v16
	;; [unrolled: 1-line block ×3, first 2 shown]
	s_waitcnt lgkmcnt(0)
	s_cmp_eq_u32 s7, 0
	v_mov_b32_e32 v17, 0
	s_cbranch_scc1 .LBB48_4
; %bb.1:
	v_mbcnt_lo_u32_b32 v0, -1, 0
	v_mbcnt_hi_u32_b32 v0, -1, v0
	v_and_b32_e32 v1, 3, v0
	v_add_u32_e32 v5, -1, v0
	v_xor_b32_e32 v7, 2, v1
	v_and_b32_e32 v6, 3, v5
	v_add_u32_e32 v5, -1, v7
	v_lshlrev_b32_e32 v11, 2, v0
	v_and_b32_e32 v9, 3, v5
	v_and_b32_e32 v10, 0x70, v0
	v_add_u32_e32 v5, 12, v0
	v_xor_b32_e32 v18, 32, v11
	v_add_u32_e32 v11, 4, v0
	v_and_or_b32 v5, v5, 15, v10
	v_and_or_b32 v10, v11, 15, v10
	v_lshlrev_b32_e32 v19, 2, v10
	v_lshrrev_b32_e32 v10, 2, v0
	v_bfe_u32 v0, v0, 2, 2
	v_xor_b32_e32 v11, 2, v0
	v_add_u32_e32 v10, -1, v10
	v_add_u32_e32 v13, -1, v11
	v_and_b32_e32 v10, 3, v10
	v_and_b32_e32 v13, 3, v13
	v_pk_mov_b32 v[2:3], 0, 0
	v_lshlrev_b32_e32 v5, 2, v5
	v_cmp_eq_u32_e32 vcc, 1, v1
	v_cmp_eq_u32_e64 s[0:1], 2, v1
	v_cmp_eq_u32_e64 s[2:3], 3, v1
	;; [unrolled: 1-line block ×23, first 2 shown]
	v_mov_b32_e32 v6, v17
	v_mov_b32_e32 v7, v17
	;; [unrolled: 1-line block ×8, first 2 shown]
	v_pk_mov_b32 v[0:1], v[16:17], v[16:17] op_sel:[0,1]
.LBB48_2:                               ; =>This Inner Loop Header: Depth=1
	s_waitcnt lgkmcnt(10)
	v_mov_b32_dpp v13, v13 quad_perm:[3,0,1,2] row_mask:0xf bank_mask:0xf
	s_waitcnt lgkmcnt(8)
	v_mov_b32_dpp v15, v15 quad_perm:[3,0,1,2] row_mask:0xf bank_mask:0xf
	v_mov_b32_dpp v14, v14 quad_perm:[3,0,1,2] row_mask:0xf bank_mask:0xf
	s_waitcnt lgkmcnt(6)
	v_mov_b32_dpp v9, v9 quad_perm:[2,3,0,1] row_mask:0xf bank_mask:0xf
	s_waitcnt lgkmcnt(4)
	v_mov_b32_dpp v11, v11 quad_perm:[2,3,0,1] row_mask:0xf bank_mask:0xf
	v_cndmask_b32_e64 v24, v3, v15, s[50:51]
	v_cndmask_b32_e64 v26, v1, v13, s[50:51]
	v_mov_b32_dpp v12, v12 quad_perm:[3,0,1,2] row_mask:0xf bank_mask:0xf
	v_mov_b32_dpp v10, v10 quad_perm:[2,3,0,1] row_mask:0xf bank_mask:0xf
	s_waitcnt lgkmcnt(2)
	v_mov_b32_dpp v17, v17 quad_perm:[1,2,3,0] row_mask:0xf bank_mask:0xf
	s_waitcnt lgkmcnt(0)
	v_mov_b32_dpp v7, v7 quad_perm:[1,2,3,0] row_mask:0xf bank_mask:0xf
	v_cndmask_b32_e32 v20, v2, v14, vcc
	v_cndmask_b32_e64 v24, v24, v11, s[8:9]
	v_cndmask_b32_e64 v25, v2, v14, s[50:51]
	;; [unrolled: 1-line block ×7, first 2 shown]
	v_mov_b32_dpp v8, v8 quad_perm:[2,3,0,1] row_mask:0xf bank_mask:0xf
	v_mov_b32_dpp v6, v6 quad_perm:[1,2,3,0] row_mask:0xf bank_mask:0xf
	v_cndmask_b32_e64 v20, v20, v10, s[0:1]
	v_cndmask_b32_e32 v21, v3, v15, vcc
	v_cndmask_b32_e32 v22, v0, v12, vcc
	;; [unrolled: 1-line block ×3, first 2 shown]
	v_cndmask_b32_e64 v24, v24, v7, s[10:11]
	v_cndmask_b32_e64 v25, v25, v10, s[8:9]
	;; [unrolled: 1-line block ×12, first 2 shown]
	v_mov_b32_dpp v4, v4 quad_perm:[1,2,3,0] row_mask:0xf bank_mask:0xf
	v_cndmask_b32_e64 v20, v20, v6, s[2:3]
	v_cndmask_b32_e64 v22, v22, v8, s[0:1]
	;; [unrolled: 1-line block ×12, first 2 shown]
	v_mov_b32_dpp v6, v26 quad_perm:[1,2,3,0] row_mask:0xf bank_mask:0xf
	v_mov_b32_dpp v8, v24 quad_perm:[1,2,3,0] row_mask:0xf bank_mask:0xf
	v_cndmask_b32_e64 v21, v21, v11, s[0:1]
	v_cndmask_b32_e64 v27, v27, v4, s[10:11]
	;; [unrolled: 1-line block ×4, first 2 shown]
	v_mov_b32_dpp v10, v30 quad_perm:[2,3,0,1] row_mask:0xf bank_mask:0xf
	v_mov_b32_dpp v12, v28 quad_perm:[2,3,0,1] row_mask:0xf bank_mask:0xf
	ds_bpermute_b32 v6, v5, v6
	ds_bpermute_b32 v8, v5, v8
	v_cndmask_b32_e64 v21, v21, v7, s[2:3]
	v_cndmask_b32_e64 v22, v22, v4, s[2:3]
	;; [unrolled: 1-line block ×5, first 2 shown]
	v_mov_b32_dpp v4, v27 quad_perm:[1,2,3,0] row_mask:0xf bank_mask:0xf
	v_mov_b32_dpp v7, v25 quad_perm:[1,2,3,0] row_mask:0xf bank_mask:0xf
	;; [unrolled: 1-line block ×4, first 2 shown]
	ds_bpermute_b32 v10, v18, v10
	ds_bpermute_b32 v12, v18, v12
	v_cndmask_b32_e64 v23, v23, v17, s[2:3]
	v_mov_b32_dpp v9, v31 quad_perm:[2,3,0,1] row_mask:0xf bank_mask:0xf
	v_mov_b32_dpp v11, v29 quad_perm:[2,3,0,1] row_mask:0xf bank_mask:0xf
	ds_bpermute_b32 v4, v5, v4
	ds_bpermute_b32 v7, v5, v7
	;; [unrolled: 1-line block ×4, first 2 shown]
	v_mov_b32_dpp v0, v0 quad_perm:[3,0,1,2] row_mask:0xf bank_mask:0xf
	v_mov_b32_dpp v2, v2 quad_perm:[3,0,1,2] row_mask:0xf bank_mask:0xf
	ds_bpermute_b32 v9, v18, v9
	ds_bpermute_b32 v11, v18, v11
	;; [unrolled: 1-line block ×4, first 2 shown]
	s_waitcnt lgkmcnt(11)
	v_cndmask_b32_e64 v0, v23, v6, s[24:25]
	s_waitcnt lgkmcnt(10)
	v_cndmask_b32_e64 v2, v21, v8, s[24:25]
	;; [unrolled: 2-line block ×5, first 2 shown]
	v_cndmask_b32_e64 v0, v22, v4, s[24:25]
	s_waitcnt lgkmcnt(4)
	v_cndmask_b32_e64 v3, v2, v17, s[28:29]
	v_cndmask_b32_e64 v2, v20, v7, s[24:25]
	v_cndmask_b32_e64 v24, v21, v8, s[30:31]
	v_cndmask_b32_e64 v25, v20, v7, s[30:31]
	v_cndmask_b32_e64 v26, v23, v6, s[30:31]
	v_cndmask_b32_e64 v27, v22, v4, s[30:31]
	v_cndmask_b32_e64 v28, v21, v8, s[38:39]
	v_cndmask_b32_e64 v29, v20, v7, s[38:39]
	v_cndmask_b32_e64 v30, v23, v6, s[38:39]
	v_cndmask_b32_e64 v31, v22, v4, s[38:39]
	v_cndmask_b32_e64 v8, v21, v8, s[44:45]
	v_cndmask_b32_e64 v7, v20, v7, s[44:45]
	v_cndmask_b32_e64 v6, v23, v6, s[44:45]
	v_cndmask_b32_e64 v4, v22, v4, s[44:45]
	v_cndmask_b32_e64 v24, v24, v12, s[34:35]
	s_waitcnt lgkmcnt(2)
	v_cndmask_b32_e64 v25, v25, v11, s[34:35]
	v_cndmask_b32_e64 v26, v26, v10, s[34:35]
	;; [unrolled: 1-line block ×14, first 2 shown]
	s_waitcnt lgkmcnt(0)
	v_cndmask_b32_e64 v25, v25, v15, s[36:37]
	v_cndmask_b32_e64 v26, v26, v14, s[36:37]
	;; [unrolled: 1-line block ×13, first 2 shown]
	ds_bpermute_b32 v12, v19, v27
	ds_bpermute_b32 v13, v19, v26
	;; [unrolled: 1-line block ×12, first 2 shown]
	s_add_i32 s7, s7, -1
	s_cmp_eq_u32 s7, 0
	; wave barrier
	s_cbranch_scc0 .LBB48_2
; %bb.3:
	s_waitcnt lgkmcnt(2)
	v_mov_b32_e32 v5, v17
	s_branch .LBB48_5
.LBB48_4:
	v_pk_mov_b32 v[6:7], 0, 0
	v_pk_mov_b32 v[2:3], 0, 0
	v_mov_b32_e32 v13, v17
	v_mov_b32_e32 v9, v17
	;; [unrolled: 1-line block ×3, first 2 shown]
	v_pk_mov_b32 v[0:1], v[16:17], v[16:17] op_sel:[0,1]
	v_pk_mov_b32 v[14:15], 0, 0
	v_pk_mov_b32 v[10:11], 0, 0
.LBB48_5:
	s_load_dwordx2 s[0:1], s[4:5], 0x0
	v_lshl_or_b32 v16, s6, 10, v16
	v_mov_b32_e32 v17, 0
	v_lshlrev_b64 v[16:17], 4, v[16:17]
	s_waitcnt lgkmcnt(0)
	v_mov_b32_e32 v18, s1
	v_add_co_u32_e32 v16, vcc, s0, v16
	v_addc_co_u32_e32 v17, vcc, v18, v17, vcc
	global_store_dwordx4 v[16:17], v[0:3], off
	global_store_dwordx4 v[16:17], v[12:15], off offset:16
	global_store_dwordx4 v[16:17], v[8:11], off offset:32
	;; [unrolled: 1-line block ×3, first 2 shown]
	s_endpgm
	.section	.rodata,"a",@progbits
	.p2align	6, 0x0
	.amdhsa_kernel _Z20warp_exchange_kernelILj256ELj4ELj16EN6common25BlockedToStripedShuffleOpEnEvPT3_j
		.amdhsa_group_segment_fixed_size 0
		.amdhsa_private_segment_fixed_size 0
		.amdhsa_kernarg_size 12
		.amdhsa_user_sgpr_count 6
		.amdhsa_user_sgpr_private_segment_buffer 1
		.amdhsa_user_sgpr_dispatch_ptr 0
		.amdhsa_user_sgpr_queue_ptr 0
		.amdhsa_user_sgpr_kernarg_segment_ptr 1
		.amdhsa_user_sgpr_dispatch_id 0
		.amdhsa_user_sgpr_flat_scratch_init 0
		.amdhsa_user_sgpr_kernarg_preload_length 0
		.amdhsa_user_sgpr_kernarg_preload_offset 0
		.amdhsa_user_sgpr_private_segment_size 0
		.amdhsa_uses_dynamic_stack 0
		.amdhsa_system_sgpr_private_segment_wavefront_offset 0
		.amdhsa_system_sgpr_workgroup_id_x 1
		.amdhsa_system_sgpr_workgroup_id_y 0
		.amdhsa_system_sgpr_workgroup_id_z 0
		.amdhsa_system_sgpr_workgroup_info 0
		.amdhsa_system_vgpr_workitem_id 0
		.amdhsa_next_free_vgpr 32
		.amdhsa_next_free_sgpr 52
		.amdhsa_accum_offset 32
		.amdhsa_reserve_vcc 1
		.amdhsa_reserve_flat_scratch 0
		.amdhsa_float_round_mode_32 0
		.amdhsa_float_round_mode_16_64 0
		.amdhsa_float_denorm_mode_32 3
		.amdhsa_float_denorm_mode_16_64 3
		.amdhsa_dx10_clamp 1
		.amdhsa_ieee_mode 1
		.amdhsa_fp16_overflow 0
		.amdhsa_tg_split 0
		.amdhsa_exception_fp_ieee_invalid_op 0
		.amdhsa_exception_fp_denorm_src 0
		.amdhsa_exception_fp_ieee_div_zero 0
		.amdhsa_exception_fp_ieee_overflow 0
		.amdhsa_exception_fp_ieee_underflow 0
		.amdhsa_exception_fp_ieee_inexact 0
		.amdhsa_exception_int_div_zero 0
	.end_amdhsa_kernel
	.section	.text._Z20warp_exchange_kernelILj256ELj4ELj16EN6common25BlockedToStripedShuffleOpEnEvPT3_j,"axG",@progbits,_Z20warp_exchange_kernelILj256ELj4ELj16EN6common25BlockedToStripedShuffleOpEnEvPT3_j,comdat
.Lfunc_end48:
	.size	_Z20warp_exchange_kernelILj256ELj4ELj16EN6common25BlockedToStripedShuffleOpEnEvPT3_j, .Lfunc_end48-_Z20warp_exchange_kernelILj256ELj4ELj16EN6common25BlockedToStripedShuffleOpEnEvPT3_j
                                        ; -- End function
	.section	.AMDGPU.csdata,"",@progbits
; Kernel info:
; codeLenInByte = 1744
; NumSgprs: 56
; NumVgprs: 32
; NumAgprs: 0
; TotalNumVgprs: 32
; ScratchSize: 0
; MemoryBound: 0
; FloatMode: 240
; IeeeMode: 1
; LDSByteSize: 0 bytes/workgroup (compile time only)
; SGPRBlocks: 6
; VGPRBlocks: 3
; NumSGPRsForWavesPerEU: 56
; NumVGPRsForWavesPerEU: 32
; AccumOffset: 32
; Occupancy: 8
; WaveLimiterHint : 0
; COMPUTE_PGM_RSRC2:SCRATCH_EN: 0
; COMPUTE_PGM_RSRC2:USER_SGPR: 6
; COMPUTE_PGM_RSRC2:TRAP_HANDLER: 0
; COMPUTE_PGM_RSRC2:TGID_X_EN: 1
; COMPUTE_PGM_RSRC2:TGID_Y_EN: 0
; COMPUTE_PGM_RSRC2:TGID_Z_EN: 0
; COMPUTE_PGM_RSRC2:TIDIG_COMP_CNT: 0
; COMPUTE_PGM_RSRC3_GFX90A:ACCUM_OFFSET: 7
; COMPUTE_PGM_RSRC3_GFX90A:TG_SPLIT: 0
	.section	.text._Z20warp_exchange_kernelILj256ELj4ELj32EN6common25BlockedToStripedShuffleOpEnEvPT3_j,"axG",@progbits,_Z20warp_exchange_kernelILj256ELj4ELj32EN6common25BlockedToStripedShuffleOpEnEvPT3_j,comdat
	.protected	_Z20warp_exchange_kernelILj256ELj4ELj32EN6common25BlockedToStripedShuffleOpEnEvPT3_j ; -- Begin function _Z20warp_exchange_kernelILj256ELj4ELj32EN6common25BlockedToStripedShuffleOpEnEvPT3_j
	.globl	_Z20warp_exchange_kernelILj256ELj4ELj32EN6common25BlockedToStripedShuffleOpEnEvPT3_j
	.p2align	8
	.type	_Z20warp_exchange_kernelILj256ELj4ELj32EN6common25BlockedToStripedShuffleOpEnEvPT3_j,@function
_Z20warp_exchange_kernelILj256ELj4ELj32EN6common25BlockedToStripedShuffleOpEnEvPT3_j: ; @_Z20warp_exchange_kernelILj256ELj4ELj32EN6common25BlockedToStripedShuffleOpEnEvPT3_j
; %bb.0:
	s_load_dword s7, s[4:5], 0x8
	v_lshlrev_b32_e32 v16, 2, v0
	v_mov_b32_e32 v17, 0
	v_or_b32_e32 v22, 1, v16
	v_or_b32_e32 v20, 2, v16
	s_waitcnt lgkmcnt(0)
	s_cmp_eq_u32 s7, 0
	v_or_b32_e32 v18, 3, v16
	s_cbranch_scc1 .LBB49_27
; %bb.1:
	v_mbcnt_lo_u32_b32 v0, -1, 0
	v_mbcnt_hi_u32_b32 v0, -1, v0
	v_and_b32_e32 v1, 3, v0
	v_lshlrev_b32_e32 v2, 2, v0
	v_and_b32_e32 v0, 28, v0
	s_movk_i32 s0, 0x180
	v_and_or_b32 v26, v2, s0, v0
	v_cmp_eq_u32_e32 vcc, 0, v1
	v_cmp_eq_u32_e64 s[0:1], 1, v1
	v_cmp_eq_u32_e64 s[2:3], 2, v1
	;; [unrolled: 1-line block ×3, first 2 shown]
	v_or_b32_e32 v27, 32, v26
	v_or_b32_e32 v28, 64, v26
	;; [unrolled: 1-line block ×3, first 2 shown]
	v_mov_b32_e32 v30, 0
	v_mov_b32_e32 v31, 0
	;; [unrolled: 1-line block ×12, first 2 shown]
	s_branch .LBB49_3
.LBB49_2:                               ;   in Loop: Header=BB49_3 Depth=1
	s_or_b64 exec, exec, s[10:11]
	s_add_i32 s7, s7, -1
	s_cmp_lg_u32 s7, 0
	s_waitcnt lgkmcnt(3)
	v_mov_b32_e32 v18, v12
	v_mov_b32_e32 v17, v13
	;; [unrolled: 1-line block ×4, first 2 shown]
	s_waitcnt lgkmcnt(1)
	v_mov_b32_e32 v20, v8
	v_mov_b32_e32 v19, v9
	v_mov_b32_e32 v32, v10
	v_mov_b32_e32 v33, v11
	v_mov_b32_e32 v22, v4
	s_waitcnt lgkmcnt(0)
	v_mov_b32_e32 v21, v5
	v_mov_b32_e32 v24, v6
	;; [unrolled: 1-line block ×7, first 2 shown]
	; wave barrier
	s_cbranch_scc0 .LBB49_28
.LBB49_3:                               ; =>This Inner Loop Header: Depth=1
	ds_bpermute_b32 v0, v26, v23
	ds_bpermute_b32 v1, v26, v34
	;; [unrolled: 1-line block ×4, first 2 shown]
	s_and_saveexec_b64 s[10:11], vcc
	s_or_b64 exec, exec, s[10:11]
	ds_bpermute_b32 v4, v26, v22
	ds_bpermute_b32 v5, v26, v21
	;; [unrolled: 1-line block ×4, first 2 shown]
	s_and_saveexec_b64 s[10:11], s[0:1]
	s_cbranch_execz .LBB49_5
; %bb.4:                                ;   in Loop: Header=BB49_3 Depth=1
	s_waitcnt lgkmcnt(2)
	v_pk_mov_b32 v[0:1], v[4:5], v[4:5] op_sel:[0,1]
	s_waitcnt lgkmcnt(0)
	v_pk_mov_b32 v[2:3], v[6:7], v[6:7] op_sel:[0,1]
.LBB49_5:                               ;   in Loop: Header=BB49_3 Depth=1
	s_or_b64 exec, exec, s[10:11]
	s_waitcnt lgkmcnt(3)
	ds_bpermute_b32 v4, v26, v20
	s_waitcnt lgkmcnt(3)
	ds_bpermute_b32 v5, v26, v19
	s_waitcnt lgkmcnt(3)
	ds_bpermute_b32 v6, v26, v32
	s_waitcnt lgkmcnt(3)
	ds_bpermute_b32 v7, v26, v33
	s_and_saveexec_b64 s[10:11], s[2:3]
	s_cbranch_execz .LBB49_7
; %bb.6:                                ;   in Loop: Header=BB49_3 Depth=1
	s_waitcnt lgkmcnt(2)
	v_pk_mov_b32 v[0:1], v[4:5], v[4:5] op_sel:[0,1]
	s_waitcnt lgkmcnt(0)
	v_pk_mov_b32 v[2:3], v[6:7], v[6:7] op_sel:[0,1]
.LBB49_7:                               ;   in Loop: Header=BB49_3 Depth=1
	s_or_b64 exec, exec, s[10:11]
	s_waitcnt lgkmcnt(3)
	ds_bpermute_b32 v4, v26, v18
	s_waitcnt lgkmcnt(3)
	ds_bpermute_b32 v5, v26, v17
	s_waitcnt lgkmcnt(3)
	ds_bpermute_b32 v6, v26, v30
	s_waitcnt lgkmcnt(3)
	ds_bpermute_b32 v7, v26, v31
	s_and_saveexec_b64 s[10:11], s[8:9]
	s_cbranch_execz .LBB49_9
; %bb.8:                                ;   in Loop: Header=BB49_3 Depth=1
	s_waitcnt lgkmcnt(2)
	v_pk_mov_b32 v[0:1], v[4:5], v[4:5] op_sel:[0,1]
	s_waitcnt lgkmcnt(0)
	v_pk_mov_b32 v[2:3], v[6:7], v[6:7] op_sel:[0,1]
.LBB49_9:                               ;   in Loop: Header=BB49_3 Depth=1
	s_or_b64 exec, exec, s[10:11]
	s_waitcnt lgkmcnt(3)
	ds_bpermute_b32 v4, v27, v23
	s_waitcnt lgkmcnt(3)
	ds_bpermute_b32 v5, v27, v34
	s_waitcnt lgkmcnt(3)
	ds_bpermute_b32 v6, v27, v35
	s_waitcnt lgkmcnt(3)
	ds_bpermute_b32 v7, v27, v36
	s_and_saveexec_b64 s[10:11], vcc
	s_or_b64 exec, exec, s[10:11]
	ds_bpermute_b32 v8, v27, v22
	ds_bpermute_b32 v9, v27, v21
	;; [unrolled: 1-line block ×4, first 2 shown]
	s_and_saveexec_b64 s[10:11], s[0:1]
	s_cbranch_execz .LBB49_11
; %bb.10:                               ;   in Loop: Header=BB49_3 Depth=1
	s_waitcnt lgkmcnt(2)
	v_pk_mov_b32 v[4:5], v[8:9], v[8:9] op_sel:[0,1]
	s_waitcnt lgkmcnt(0)
	v_pk_mov_b32 v[6:7], v[10:11], v[10:11] op_sel:[0,1]
.LBB49_11:                              ;   in Loop: Header=BB49_3 Depth=1
	s_or_b64 exec, exec, s[10:11]
	s_waitcnt lgkmcnt(3)
	ds_bpermute_b32 v8, v27, v20
	s_waitcnt lgkmcnt(3)
	ds_bpermute_b32 v9, v27, v19
	s_waitcnt lgkmcnt(3)
	ds_bpermute_b32 v10, v27, v32
	s_waitcnt lgkmcnt(3)
	ds_bpermute_b32 v11, v27, v33
	s_and_saveexec_b64 s[10:11], s[2:3]
	s_cbranch_execz .LBB49_13
; %bb.12:                               ;   in Loop: Header=BB49_3 Depth=1
	s_waitcnt lgkmcnt(2)
	v_pk_mov_b32 v[4:5], v[8:9], v[8:9] op_sel:[0,1]
	s_waitcnt lgkmcnt(0)
	v_pk_mov_b32 v[6:7], v[10:11], v[10:11] op_sel:[0,1]
.LBB49_13:                              ;   in Loop: Header=BB49_3 Depth=1
	s_or_b64 exec, exec, s[10:11]
	s_waitcnt lgkmcnt(3)
	ds_bpermute_b32 v8, v27, v18
	s_waitcnt lgkmcnt(3)
	ds_bpermute_b32 v9, v27, v17
	s_waitcnt lgkmcnt(3)
	ds_bpermute_b32 v10, v27, v30
	s_waitcnt lgkmcnt(3)
	ds_bpermute_b32 v11, v27, v31
	;; [unrolled: 17-line block ×3, first 2 shown]
	s_and_saveexec_b64 s[10:11], vcc
	s_or_b64 exec, exec, s[10:11]
	ds_bpermute_b32 v12, v28, v22
	ds_bpermute_b32 v13, v28, v21
	;; [unrolled: 1-line block ×4, first 2 shown]
	s_and_saveexec_b64 s[10:11], s[0:1]
	s_cbranch_execz .LBB49_17
; %bb.16:                               ;   in Loop: Header=BB49_3 Depth=1
	s_waitcnt lgkmcnt(2)
	v_pk_mov_b32 v[8:9], v[12:13], v[12:13] op_sel:[0,1]
	s_waitcnt lgkmcnt(0)
	v_pk_mov_b32 v[10:11], v[14:15], v[14:15] op_sel:[0,1]
.LBB49_17:                              ;   in Loop: Header=BB49_3 Depth=1
	s_or_b64 exec, exec, s[10:11]
	s_waitcnt lgkmcnt(3)
	ds_bpermute_b32 v12, v28, v20
	s_waitcnt lgkmcnt(3)
	ds_bpermute_b32 v13, v28, v19
	s_waitcnt lgkmcnt(3)
	ds_bpermute_b32 v14, v28, v32
	s_waitcnt lgkmcnt(3)
	ds_bpermute_b32 v15, v28, v33
	s_and_saveexec_b64 s[10:11], s[2:3]
	s_cbranch_execz .LBB49_19
; %bb.18:                               ;   in Loop: Header=BB49_3 Depth=1
	s_waitcnt lgkmcnt(2)
	v_pk_mov_b32 v[8:9], v[12:13], v[12:13] op_sel:[0,1]
	s_waitcnt lgkmcnt(0)
	v_pk_mov_b32 v[10:11], v[14:15], v[14:15] op_sel:[0,1]
.LBB49_19:                              ;   in Loop: Header=BB49_3 Depth=1
	s_or_b64 exec, exec, s[10:11]
	s_waitcnt lgkmcnt(3)
	ds_bpermute_b32 v12, v28, v18
	s_waitcnt lgkmcnt(3)
	ds_bpermute_b32 v13, v28, v17
	s_waitcnt lgkmcnt(3)
	ds_bpermute_b32 v14, v28, v30
	s_waitcnt lgkmcnt(3)
	ds_bpermute_b32 v15, v28, v31
	;; [unrolled: 17-line block ×3, first 2 shown]
	s_and_saveexec_b64 s[10:11], vcc
	s_or_b64 exec, exec, s[10:11]
	ds_bpermute_b32 v22, v29, v22
	ds_bpermute_b32 v23, v29, v21
	ds_bpermute_b32 v24, v29, v24
	ds_bpermute_b32 v25, v29, v25
	s_and_saveexec_b64 s[10:11], s[0:1]
	s_cbranch_execz .LBB49_23
; %bb.22:                               ;   in Loop: Header=BB49_3 Depth=1
	s_waitcnt lgkmcnt(2)
	v_pk_mov_b32 v[12:13], v[22:23], v[22:23] op_sel:[0,1]
	s_waitcnt lgkmcnt(0)
	v_pk_mov_b32 v[14:15], v[24:25], v[24:25] op_sel:[0,1]
.LBB49_23:                              ;   in Loop: Header=BB49_3 Depth=1
	s_or_b64 exec, exec, s[10:11]
	ds_bpermute_b32 v20, v29, v20
	ds_bpermute_b32 v21, v29, v19
	s_waitcnt lgkmcnt(5)
	ds_bpermute_b32 v22, v29, v32
	s_waitcnt lgkmcnt(5)
	ds_bpermute_b32 v23, v29, v33
	s_and_saveexec_b64 s[10:11], s[2:3]
	s_cbranch_execz .LBB49_25
; %bb.24:                               ;   in Loop: Header=BB49_3 Depth=1
	s_waitcnt lgkmcnt(2)
	v_pk_mov_b32 v[12:13], v[20:21], v[20:21] op_sel:[0,1]
	s_waitcnt lgkmcnt(0)
	v_pk_mov_b32 v[14:15], v[22:23], v[22:23] op_sel:[0,1]
.LBB49_25:                              ;   in Loop: Header=BB49_3 Depth=1
	s_or_b64 exec, exec, s[10:11]
	ds_bpermute_b32 v18, v29, v18
	ds_bpermute_b32 v19, v29, v17
	s_waitcnt lgkmcnt(5)
	ds_bpermute_b32 v20, v29, v30
	s_waitcnt lgkmcnt(5)
	ds_bpermute_b32 v21, v29, v31
	s_and_saveexec_b64 s[10:11], s[8:9]
	s_cbranch_execz .LBB49_2
; %bb.26:                               ;   in Loop: Header=BB49_3 Depth=1
	s_waitcnt lgkmcnt(2)
	v_pk_mov_b32 v[12:13], v[18:19], v[18:19] op_sel:[0,1]
	s_waitcnt lgkmcnt(0)
	v_pk_mov_b32 v[14:15], v[20:21], v[20:21] op_sel:[0,1]
	s_branch .LBB49_2
.LBB49_27:
	v_pk_mov_b32 v[2:3], 0, 0
	v_mov_b32_e32 v23, v17
	v_mov_b32_e32 v21, v17
	;; [unrolled: 1-line block ×3, first 2 shown]
	v_pk_mov_b32 v[14:15], 0, 0
	v_pk_mov_b32 v[0:1], v[16:17], v[16:17] op_sel:[0,1]
	v_pk_mov_b32 v[4:5], v[22:23], v[22:23] op_sel:[0,1]
	;; [unrolled: 1-line block ×6, first 2 shown]
.LBB49_28:
	s_load_dwordx2 s[0:1], s[4:5], 0x0
	v_lshl_or_b32 v16, s6, 10, v16
	v_mov_b32_e32 v17, 0
	v_lshlrev_b64 v[16:17], 4, v[16:17]
	s_waitcnt lgkmcnt(0)
	v_mov_b32_e32 v18, s1
	v_add_co_u32_e32 v16, vcc, s0, v16
	v_addc_co_u32_e32 v17, vcc, v18, v17, vcc
	global_store_dwordx4 v[16:17], v[0:3], off
	global_store_dwordx4 v[16:17], v[4:7], off offset:16
	global_store_dwordx4 v[16:17], v[8:11], off offset:32
	;; [unrolled: 1-line block ×3, first 2 shown]
	s_endpgm
	.section	.rodata,"a",@progbits
	.p2align	6, 0x0
	.amdhsa_kernel _Z20warp_exchange_kernelILj256ELj4ELj32EN6common25BlockedToStripedShuffleOpEnEvPT3_j
		.amdhsa_group_segment_fixed_size 0
		.amdhsa_private_segment_fixed_size 0
		.amdhsa_kernarg_size 12
		.amdhsa_user_sgpr_count 6
		.amdhsa_user_sgpr_private_segment_buffer 1
		.amdhsa_user_sgpr_dispatch_ptr 0
		.amdhsa_user_sgpr_queue_ptr 0
		.amdhsa_user_sgpr_kernarg_segment_ptr 1
		.amdhsa_user_sgpr_dispatch_id 0
		.amdhsa_user_sgpr_flat_scratch_init 0
		.amdhsa_user_sgpr_kernarg_preload_length 0
		.amdhsa_user_sgpr_kernarg_preload_offset 0
		.amdhsa_user_sgpr_private_segment_size 0
		.amdhsa_uses_dynamic_stack 0
		.amdhsa_system_sgpr_private_segment_wavefront_offset 0
		.amdhsa_system_sgpr_workgroup_id_x 1
		.amdhsa_system_sgpr_workgroup_id_y 0
		.amdhsa_system_sgpr_workgroup_id_z 0
		.amdhsa_system_sgpr_workgroup_info 0
		.amdhsa_system_vgpr_workitem_id 0
		.amdhsa_next_free_vgpr 37
		.amdhsa_next_free_sgpr 12
		.amdhsa_accum_offset 40
		.amdhsa_reserve_vcc 1
		.amdhsa_reserve_flat_scratch 0
		.amdhsa_float_round_mode_32 0
		.amdhsa_float_round_mode_16_64 0
		.amdhsa_float_denorm_mode_32 3
		.amdhsa_float_denorm_mode_16_64 3
		.amdhsa_dx10_clamp 1
		.amdhsa_ieee_mode 1
		.amdhsa_fp16_overflow 0
		.amdhsa_tg_split 0
		.amdhsa_exception_fp_ieee_invalid_op 0
		.amdhsa_exception_fp_denorm_src 0
		.amdhsa_exception_fp_ieee_div_zero 0
		.amdhsa_exception_fp_ieee_overflow 0
		.amdhsa_exception_fp_ieee_underflow 0
		.amdhsa_exception_fp_ieee_inexact 0
		.amdhsa_exception_int_div_zero 0
	.end_amdhsa_kernel
	.section	.text._Z20warp_exchange_kernelILj256ELj4ELj32EN6common25BlockedToStripedShuffleOpEnEvPT3_j,"axG",@progbits,_Z20warp_exchange_kernelILj256ELj4ELj32EN6common25BlockedToStripedShuffleOpEnEvPT3_j,comdat
.Lfunc_end49:
	.size	_Z20warp_exchange_kernelILj256ELj4ELj32EN6common25BlockedToStripedShuffleOpEnEvPT3_j, .Lfunc_end49-_Z20warp_exchange_kernelILj256ELj4ELj32EN6common25BlockedToStripedShuffleOpEnEvPT3_j
                                        ; -- End function
	.section	.AMDGPU.csdata,"",@progbits
; Kernel info:
; codeLenInByte = 1560
; NumSgprs: 16
; NumVgprs: 37
; NumAgprs: 0
; TotalNumVgprs: 37
; ScratchSize: 0
; MemoryBound: 0
; FloatMode: 240
; IeeeMode: 1
; LDSByteSize: 0 bytes/workgroup (compile time only)
; SGPRBlocks: 1
; VGPRBlocks: 4
; NumSGPRsForWavesPerEU: 16
; NumVGPRsForWavesPerEU: 37
; AccumOffset: 40
; Occupancy: 8
; WaveLimiterHint : 0
; COMPUTE_PGM_RSRC2:SCRATCH_EN: 0
; COMPUTE_PGM_RSRC2:USER_SGPR: 6
; COMPUTE_PGM_RSRC2:TRAP_HANDLER: 0
; COMPUTE_PGM_RSRC2:TGID_X_EN: 1
; COMPUTE_PGM_RSRC2:TGID_Y_EN: 0
; COMPUTE_PGM_RSRC2:TGID_Z_EN: 0
; COMPUTE_PGM_RSRC2:TIDIG_COMP_CNT: 0
; COMPUTE_PGM_RSRC3_GFX90A:ACCUM_OFFSET: 9
; COMPUTE_PGM_RSRC3_GFX90A:TG_SPLIT: 0
	.section	.text._Z20warp_exchange_kernelILj256ELj16ELj16EN6common25BlockedToStripedShuffleOpEnEvPT3_j,"axG",@progbits,_Z20warp_exchange_kernelILj256ELj16ELj16EN6common25BlockedToStripedShuffleOpEnEvPT3_j,comdat
	.protected	_Z20warp_exchange_kernelILj256ELj16ELj16EN6common25BlockedToStripedShuffleOpEnEvPT3_j ; -- Begin function _Z20warp_exchange_kernelILj256ELj16ELj16EN6common25BlockedToStripedShuffleOpEnEvPT3_j
	.globl	_Z20warp_exchange_kernelILj256ELj16ELj16EN6common25BlockedToStripedShuffleOpEnEvPT3_j
	.p2align	8
	.type	_Z20warp_exchange_kernelILj256ELj16ELj16EN6common25BlockedToStripedShuffleOpEnEvPT3_j,@function
_Z20warp_exchange_kernelILj256ELj16ELj16EN6common25BlockedToStripedShuffleOpEnEvPT3_j: ; @_Z20warp_exchange_kernelILj256ELj16ELj16EN6common25BlockedToStripedShuffleOpEnEvPT3_j
; %bb.0:
	s_add_u32 s0, s0, s9
	s_load_dword s9, s[4:5], 0x8
	s_addc_u32 s1, s1, 0
	v_lshlrev_b32_e32 v64, 4, v0
	v_or_b32_e32 v56, 1, v64
	v_or_b32_e32 v52, 2, v64
	;; [unrolled: 1-line block ×14, first 2 shown]
	s_waitcnt lgkmcnt(0)
	s_cmp_eq_u32 s9, 0
	v_or_b32_e32 v20, 15, v64
	s_cbranch_scc1 .LBB50_3
; %bb.1:
	v_mbcnt_lo_u32_b32 v1, -1, 0
	v_mbcnt_hi_u32_b32 v1, -1, v1
	v_and_b32_e32 v2, 8, v1
	v_mov_b32_e32 v5, 0x90
	v_cmp_eq_u32_e32 vcc, 0, v2
	v_mov_b32_e32 v6, 0xa0
	v_mov_b32_e32 v10, 0xb0
	;; [unrolled: 1-line block ×9, first 2 shown]
	v_and_b32_e32 v39, 4, v1
	v_lshlrev_b32_e32 v3, 4, v2
	v_cndmask_b32_e32 v2, 16, v5, vcc
	v_cndmask_b32_e32 v7, 32, v6, vcc
	;; [unrolled: 1-line block ×7, first 2 shown]
	v_cmp_eq_u32_e32 vcc, 0, v39
	v_mov_b32_e32 v45, 0x80
	v_and_b32_e32 v51, 2, v1
	v_and_b32_e32 v1, 1, v1
	v_mov_b32_e32 v21, 0
	v_lshlrev_b32_e32 v41, 4, v39
	v_cndmask_b32_e32 v39, 16, v18, vcc
	v_cndmask_b32_e32 v42, 32, v27, vcc
	;; [unrolled: 1-line block ×7, first 2 shown]
	v_lshlrev_b32_e32 v53, 4, v51
	v_cmp_eq_u32_e32 vcc, 0, v51
	v_cmp_eq_u32_e64 s[6:7], 0, v1
	v_lshlrev_b32_e32 v1, 4, v1
	v_mov_b32_e32 v65, v21
	v_xor_b32_e32 v3, 0x80, v3
	v_xor_b32_e32 v41, 64, v41
	;; [unrolled: 1-line block ×3, first 2 shown]
	v_cndmask_b32_e64 v51, 16, 48, vcc
	v_cndmask_b32_e32 v54, 64, v27, vcc
	v_cndmask_b32_e32 v55, v18, v34, vcc
	;; [unrolled: 1-line block ×3, first 2 shown]
	v_cndmask_b32_e64 v58, 32, 48, s[6:7]
	v_cndmask_b32_e64 v27, v27, v34, s[6:7]
	v_cndmask_b32_e32 v34, v5, v10, vcc
	v_cndmask_b32_e64 v5, v45, v5, s[6:7]
	v_cndmask_b32_e32 v45, v14, v30, vcc
	;; [unrolled: 2-line block ×3, first 2 shown]
	v_xor_b32_e32 v1, 16, v1
	v_cndmask_b32_e64 v18, 64, v18, s[6:7]
	v_cndmask_b32_e64 v14, v14, v19, s[6:7]
	;; [unrolled: 1-line block ×3, first 2 shown]
	v_pk_mov_b32 v[22:23], 0, 0
	v_mov_b32_e32 v33, v21
	v_mov_b32_e32 v25, v21
	v_mov_b32_e32 v37, v21
	v_mov_b32_e32 v9, v21
	v_mov_b32_e32 v17, v21
	v_mov_b32_e32 v13, v21
	v_mov_b32_e32 v29, v21
	v_add_u32_e32 v66, 0, v3
	v_add_u32_e32 v67, 0, v2
	;; [unrolled: 1-line block ×32, first 2 shown]
	v_pk_mov_b32 v[34:35], 0, 0
	v_pk_mov_b32 v[26:27], 0, 0
	v_pk_mov_b32 v[38:39], 0, 0
	v_pk_mov_b32 v[10:11], 0, 0
	v_pk_mov_b32 v[18:19], 0, 0
	v_pk_mov_b32 v[14:15], 0, 0
	v_pk_mov_b32 v[30:31], 0, 0
	v_mov_b32_e32 v1, v21
	v_pk_mov_b32 v[2:3], 0, 0
	v_mov_b32_e32 v5, v21
	v_pk_mov_b32 v[6:7], 0, 0
	;; [unrolled: 2-line block ×7, first 2 shown]
	v_pk_mov_b32 v[62:63], 0, 0
	v_pk_mov_b32 v[60:61], v[64:65], v[64:65] op_sel:[0,1]
.LBB50_2:                               ; =>This Inner Loop Header: Depth=1
	s_waitcnt vmcnt(62)
	buffer_store_dword v61, off, s[0:3], 0 offset:4
	buffer_store_dword v60, off, s[0:3], 0
	buffer_store_dword v63, off, s[0:3], 0 offset:12
	buffer_store_dword v62, off, s[0:3], 0 offset:8
	;; [unrolled: 1-line block ×6, first 2 shown]
	s_waitcnt vmcnt(62)
	buffer_store_dword v53, off, s[0:3], 0 offset:36
	buffer_store_dword v52, off, s[0:3], 0 offset:32
	;; [unrolled: 1-line block ×8, first 2 shown]
	s_waitcnt vmcnt(62)
	buffer_store_dword v45, off, s[0:3], 0 offset:68
	buffer_store_dword v44, off, s[0:3], 0 offset:64
	;; [unrolled: 1-line block ×16, first 2 shown]
	s_waitcnt vmcnt(62)
	buffer_store_dword v29, off, s[0:3], 0 offset:132
	buffer_store_dword v28, off, s[0:3], 0 offset:128
	buffer_store_dword v31, off, s[0:3], 0 offset:140
	buffer_store_dword v30, off, s[0:3], 0 offset:136
	buffer_store_dword v13, off, s[0:3], 0 offset:148
	buffer_store_dword v12, off, s[0:3], 0 offset:144
	buffer_store_dword v15, off, s[0:3], 0 offset:156
	buffer_store_dword v14, off, s[0:3], 0 offset:152
	buffer_store_dword v17, off, s[0:3], 0 offset:164
	buffer_store_dword v16, off, s[0:3], 0 offset:160
	s_waitcnt vmcnt(62)
	buffer_store_dword v19, off, s[0:3], 0 offset:172
	buffer_store_dword v18, off, s[0:3], 0 offset:168
	;; [unrolled: 1-line block ×6, first 2 shown]
	s_waitcnt vmcnt(62)
	buffer_store_dword v37, off, s[0:3], 0 offset:196
	buffer_store_dword v36, off, s[0:3], 0 offset:192
	s_waitcnt vmcnt(62)
	buffer_store_dword v39, off, s[0:3], 0 offset:204
	buffer_store_dword v38, off, s[0:3], 0 offset:200
	;; [unrolled: 3-line block ×8, first 2 shown]
	buffer_load_dword v0, v66, s[0:3], 0 offen offset:12
	buffer_load_dword v1, v66, s[0:3], 0 offen offset:8
	buffer_load_dword v2, v66, s[0:3], 0 offen offset:4
	buffer_load_dword v3, v66, s[0:3], 0 offen
	s_add_i32 s9, s9, -1
	s_cmp_lg_u32 s9, 0
	s_waitcnt vmcnt(3)
	ds_swizzle_b32 v0, v0 offset:swizzle(SWAP,8)
	s_waitcnt vmcnt(2)
	ds_swizzle_b32 v1, v1 offset:swizzle(SWAP,8)
	s_waitcnt vmcnt(1)
	ds_swizzle_b32 v2, v2 offset:swizzle(SWAP,8)
	s_waitcnt vmcnt(0)
	ds_swizzle_b32 v3, v3 offset:swizzle(SWAP,8)
	s_waitcnt lgkmcnt(3)
	buffer_store_dword v0, v66, s[0:3], 0 offen offset:12
	s_waitcnt lgkmcnt(2)
	buffer_store_dword v1, v66, s[0:3], 0 offen offset:8
	s_waitcnt lgkmcnt(1)
	buffer_store_dword v2, v66, s[0:3], 0 offen offset:4
	s_waitcnt lgkmcnt(0)
	buffer_store_dword v3, v66, s[0:3], 0 offen
	buffer_load_dword v0, v67, s[0:3], 0 offen offset:12
	buffer_load_dword v1, v67, s[0:3], 0 offen offset:8
	buffer_load_dword v2, v67, s[0:3], 0 offen offset:4
	s_nop 0
	buffer_load_dword v3, v67, s[0:3], 0 offen
	s_waitcnt vmcnt(3)
	ds_swizzle_b32 v0, v0 offset:swizzle(SWAP,8)
	s_waitcnt vmcnt(2)
	ds_swizzle_b32 v1, v1 offset:swizzle(SWAP,8)
	s_waitcnt vmcnt(1)
	ds_swizzle_b32 v2, v2 offset:swizzle(SWAP,8)
	s_waitcnt vmcnt(0)
	ds_swizzle_b32 v3, v3 offset:swizzle(SWAP,8)
	s_waitcnt lgkmcnt(3)
	buffer_store_dword v0, v67, s[0:3], 0 offen offset:12
	s_waitcnt lgkmcnt(2)
	buffer_store_dword v1, v67, s[0:3], 0 offen offset:8
	s_waitcnt lgkmcnt(1)
	buffer_store_dword v2, v67, s[0:3], 0 offen offset:4
	s_waitcnt lgkmcnt(0)
	buffer_store_dword v3, v67, s[0:3], 0 offen
	buffer_load_dword v0, v68, s[0:3], 0 offen offset:12
	buffer_load_dword v1, v68, s[0:3], 0 offen offset:8
	buffer_load_dword v2, v68, s[0:3], 0 offen offset:4
	s_nop 0
	buffer_load_dword v3, v68, s[0:3], 0 offen
	;; [unrolled: 21-line block ×4, first 2 shown]
	s_waitcnt vmcnt(3)
	ds_swizzle_b32 v0, v0 offset:swizzle(SWAP,8)
	s_waitcnt vmcnt(2)
	ds_swizzle_b32 v1, v1 offset:swizzle(SWAP,8)
	;; [unrolled: 2-line block ×4, first 2 shown]
	s_waitcnt lgkmcnt(3)
	buffer_store_dword v0, v70, s[0:3], 0 offen offset:12
	s_waitcnt lgkmcnt(2)
	buffer_store_dword v1, v70, s[0:3], 0 offen offset:8
	;; [unrolled: 2-line block ×3, first 2 shown]
	s_waitcnt lgkmcnt(0)
	buffer_store_dword v3, v70, s[0:3], 0 offen
	buffer_load_dword v0, v71, s[0:3], 0 offen
	buffer_load_dword v1, v71, s[0:3], 0 offen offset:12
	buffer_load_dword v2, v71, s[0:3], 0 offen offset:8
	s_nop 0
	buffer_load_dword v3, v71, s[0:3], 0 offen offset:4
	buffer_load_dword v4, v74, s[0:3], 0 offen
	buffer_load_dword v5, v74, s[0:3], 0 offen offset:12
	s_waitcnt vmcnt(5)
	ds_swizzle_b32 v0, v0 offset:swizzle(SWAP,8)
	s_waitcnt vmcnt(4)
	ds_swizzle_b32 v1, v1 offset:swizzle(SWAP,8)
	;; [unrolled: 2-line block ×6, first 2 shown]
	s_waitcnt lgkmcnt(4)
	buffer_store_dword v1, v71, s[0:3], 0 offen offset:12
	s_waitcnt lgkmcnt(3)
	buffer_store_dword v2, v71, s[0:3], 0 offen offset:8
	;; [unrolled: 2-line block ×3, first 2 shown]
	buffer_store_dword v0, v71, s[0:3], 0 offen
	s_waitcnt lgkmcnt(0)
	buffer_store_dword v5, v74, s[0:3], 0 offen offset:12
	buffer_store_dword v4, v74, s[0:3], 0 offen
	buffer_load_dword v0, v72, s[0:3], 0 offen offset:12
	buffer_load_dword v1, v72, s[0:3], 0 offen offset:8
	buffer_load_dword v2, v72, s[0:3], 0 offen offset:4
	buffer_load_dword v3, v72, s[0:3], 0 offen
	s_nop 0
	buffer_load_dword v4, v74, s[0:3], 0 offen offset:4
	s_waitcnt vmcnt(4)
	ds_swizzle_b32 v0, v0 offset:swizzle(SWAP,8)
	s_waitcnt vmcnt(3)
	ds_swizzle_b32 v1, v1 offset:swizzle(SWAP,8)
	;; [unrolled: 2-line block ×5, first 2 shown]
	s_waitcnt lgkmcnt(4)
	buffer_store_dword v0, v72, s[0:3], 0 offen offset:12
	s_waitcnt lgkmcnt(3)
	buffer_store_dword v1, v72, s[0:3], 0 offen offset:8
	;; [unrolled: 2-line block ×3, first 2 shown]
	s_waitcnt lgkmcnt(1)
	buffer_store_dword v3, v72, s[0:3], 0 offen
	s_waitcnt lgkmcnt(0)
	buffer_store_dword v4, v74, s[0:3], 0 offen offset:4
	buffer_load_dword v0, v73, s[0:3], 0 offen offset:12
	buffer_load_dword v1, v73, s[0:3], 0 offen offset:8
	;; [unrolled: 1-line block ×3, first 2 shown]
	buffer_load_dword v3, v73, s[0:3], 0 offen
	s_nop 0
	buffer_load_dword v4, v74, s[0:3], 0 offen offset:8
	s_waitcnt vmcnt(4)
	ds_swizzle_b32 v0, v0 offset:swizzle(SWAP,8)
	s_waitcnt vmcnt(3)
	ds_swizzle_b32 v1, v1 offset:swizzle(SWAP,8)
	s_waitcnt vmcnt(2)
	ds_swizzle_b32 v2, v2 offset:swizzle(SWAP,8)
	s_waitcnt vmcnt(1)
	ds_swizzle_b32 v3, v3 offset:swizzle(SWAP,8)
	s_waitcnt vmcnt(0)
	ds_swizzle_b32 v4, v4 offset:swizzle(SWAP,4)
	s_waitcnt lgkmcnt(4)
	buffer_store_dword v0, v73, s[0:3], 0 offen offset:12
	s_waitcnt lgkmcnt(3)
	buffer_store_dword v1, v73, s[0:3], 0 offen offset:8
	;; [unrolled: 2-line block ×3, first 2 shown]
	s_waitcnt lgkmcnt(1)
	buffer_store_dword v3, v73, s[0:3], 0 offen
	s_waitcnt lgkmcnt(0)
	buffer_store_dword v4, v74, s[0:3], 0 offen offset:8
	buffer_load_dword v0, v75, s[0:3], 0 offen
	buffer_load_dword v1, v75, s[0:3], 0 offen offset:12
	buffer_load_dword v2, v75, s[0:3], 0 offen offset:8
	;; [unrolled: 1-line block ×3, first 2 shown]
	s_nop 0
	buffer_load_dword v4, v78, s[0:3], 0 offen
	buffer_load_dword v5, v78, s[0:3], 0 offen offset:12
	s_waitcnt vmcnt(5)
	ds_swizzle_b32 v0, v0 offset:swizzle(SWAP,4)
	s_waitcnt vmcnt(4)
	ds_swizzle_b32 v1, v1 offset:swizzle(SWAP,4)
	;; [unrolled: 2-line block ×6, first 2 shown]
	s_waitcnt lgkmcnt(4)
	buffer_store_dword v1, v75, s[0:3], 0 offen offset:12
	s_waitcnt lgkmcnt(3)
	buffer_store_dword v2, v75, s[0:3], 0 offen offset:8
	;; [unrolled: 2-line block ×3, first 2 shown]
	buffer_store_dword v0, v75, s[0:3], 0 offen
	s_waitcnt lgkmcnt(0)
	buffer_store_dword v5, v78, s[0:3], 0 offen offset:12
	buffer_store_dword v4, v78, s[0:3], 0 offen
	buffer_load_dword v0, v76, s[0:3], 0 offen offset:12
	buffer_load_dword v1, v76, s[0:3], 0 offen offset:8
	;; [unrolled: 1-line block ×3, first 2 shown]
	buffer_load_dword v3, v76, s[0:3], 0 offen
	s_nop 0
	buffer_load_dword v4, v78, s[0:3], 0 offen offset:4
	s_waitcnt vmcnt(4)
	ds_swizzle_b32 v0, v0 offset:swizzle(SWAP,4)
	s_waitcnt vmcnt(3)
	ds_swizzle_b32 v1, v1 offset:swizzle(SWAP,4)
	;; [unrolled: 2-line block ×5, first 2 shown]
	s_waitcnt lgkmcnt(4)
	buffer_store_dword v0, v76, s[0:3], 0 offen offset:12
	s_waitcnt lgkmcnt(3)
	buffer_store_dword v1, v76, s[0:3], 0 offen offset:8
	;; [unrolled: 2-line block ×3, first 2 shown]
	s_waitcnt lgkmcnt(1)
	buffer_store_dword v3, v76, s[0:3], 0 offen
	s_waitcnt lgkmcnt(0)
	buffer_store_dword v4, v78, s[0:3], 0 offen offset:4
	buffer_load_dword v0, v77, s[0:3], 0 offen
	buffer_load_dword v1, v77, s[0:3], 0 offen offset:12
	buffer_load_dword v2, v77, s[0:3], 0 offen offset:8
	;; [unrolled: 1-line block ×3, first 2 shown]
	s_nop 0
	buffer_load_dword v4, v78, s[0:3], 0 offen offset:8
	buffer_load_dword v5, v82, s[0:3], 0 offen
	s_waitcnt vmcnt(5)
	ds_swizzle_b32 v0, v0 offset:swizzle(SWAP,4)
	s_waitcnt vmcnt(4)
	ds_swizzle_b32 v1, v1 offset:swizzle(SWAP,4)
	;; [unrolled: 2-line block ×6, first 2 shown]
	s_waitcnt lgkmcnt(4)
	buffer_store_dword v1, v77, s[0:3], 0 offen offset:12
	s_waitcnt lgkmcnt(3)
	buffer_store_dword v2, v77, s[0:3], 0 offen offset:8
	;; [unrolled: 2-line block ×3, first 2 shown]
	buffer_store_dword v0, v77, s[0:3], 0 offen
	s_waitcnt lgkmcnt(1)
	buffer_store_dword v4, v78, s[0:3], 0 offen offset:8
	s_waitcnt lgkmcnt(0)
	buffer_store_dword v5, v82, s[0:3], 0 offen
	buffer_load_dword v0, v79, s[0:3], 0 offen
	buffer_load_dword v1, v79, s[0:3], 0 offen offset:12
	buffer_load_dword v2, v79, s[0:3], 0 offen offset:8
	buffer_load_dword v3, v79, s[0:3], 0 offen offset:4
	buffer_load_dword v4, v82, s[0:3], 0 offen offset:4
	buffer_load_dword v5, v84, s[0:3], 0 offen
	s_waitcnt vmcnt(5)
	ds_swizzle_b32 v0, v0 offset:swizzle(SWAP,4)
	s_waitcnt vmcnt(4)
	ds_swizzle_b32 v1, v1 offset:swizzle(SWAP,4)
	;; [unrolled: 2-line block ×6, first 2 shown]
	s_waitcnt lgkmcnt(4)
	buffer_store_dword v1, v79, s[0:3], 0 offen offset:12
	s_waitcnt lgkmcnt(3)
	buffer_store_dword v2, v79, s[0:3], 0 offen offset:8
	s_waitcnt lgkmcnt(2)
	buffer_store_dword v3, v79, s[0:3], 0 offen offset:4
	buffer_store_dword v0, v79, s[0:3], 0 offen
	s_waitcnt lgkmcnt(1)
	buffer_store_dword v4, v82, s[0:3], 0 offen offset:4
	s_waitcnt lgkmcnt(0)
	buffer_store_dword v5, v84, s[0:3], 0 offen
	buffer_load_dword v0, v80, s[0:3], 0 offen
	buffer_load_dword v1, v80, s[0:3], 0 offen offset:12
	buffer_load_dword v2, v80, s[0:3], 0 offen offset:8
	;; [unrolled: 1-line block ×5, first 2 shown]
	s_waitcnt vmcnt(5)
	ds_swizzle_b32 v0, v0 offset:swizzle(SWAP,4)
	s_waitcnt vmcnt(4)
	ds_swizzle_b32 v1, v1 offset:swizzle(SWAP,4)
	;; [unrolled: 2-line block ×6, first 2 shown]
	s_waitcnt lgkmcnt(4)
	buffer_store_dword v1, v80, s[0:3], 0 offen offset:12
	s_waitcnt lgkmcnt(3)
	buffer_store_dword v2, v80, s[0:3], 0 offen offset:8
	;; [unrolled: 2-line block ×3, first 2 shown]
	buffer_store_dword v0, v80, s[0:3], 0 offen
	s_waitcnt lgkmcnt(1)
	buffer_store_dword v4, v82, s[0:3], 0 offen offset:8
	s_waitcnt lgkmcnt(0)
	buffer_store_dword v5, v84, s[0:3], 0 offen offset:4
	buffer_load_dword v0, v81, s[0:3], 0 offen
	buffer_load_dword v1, v81, s[0:3], 0 offen offset:4
	buffer_load_dword v2, v81, s[0:3], 0 offen offset:8
	buffer_load_dword v3, v81, s[0:3], 0 offen offset:12
	buffer_load_dword v4, v82, s[0:3], 0 offen offset:12
	buffer_load_dword v5, v84, s[0:3], 0 offen offset:8
	buffer_load_dword v6, v86, s[0:3], 0 offen
	buffer_load_dword v7, v86, s[0:3], 0 offen offset:12
	s_waitcnt vmcnt(7)
	ds_swizzle_b32 v0, v0 offset:swizzle(SWAP,4)
	s_waitcnt vmcnt(6)
	ds_swizzle_b32 v1, v1 offset:swizzle(SWAP,4)
	s_waitcnt vmcnt(5)
	ds_swizzle_b32 v2, v2 offset:swizzle(SWAP,4)
	s_waitcnt vmcnt(4)
	ds_swizzle_b32 v3, v3 offset:swizzle(SWAP,4)
	s_waitcnt vmcnt(3)
	ds_swizzle_b32 v4, v4 offset:swizzle(SWAP,2)
	s_waitcnt vmcnt(2)
	ds_swizzle_b32 v5, v5 offset:swizzle(SWAP,2)
	s_waitcnt vmcnt(1)
	ds_swizzle_b32 v6, v6 offset:swizzle(SWAP,2)
	s_waitcnt vmcnt(0)
	ds_swizzle_b32 v7, v7 offset:swizzle(SWAP,2)
	s_waitcnt lgkmcnt(4)
	buffer_store_dword v3, v81, s[0:3], 0 offen offset:12
	buffer_store_dword v2, v81, s[0:3], 0 offen offset:8
	buffer_store_dword v1, v81, s[0:3], 0 offen offset:4
	buffer_store_dword v0, v81, s[0:3], 0 offen
	s_waitcnt lgkmcnt(3)
	buffer_store_dword v4, v82, s[0:3], 0 offen offset:12
	s_waitcnt lgkmcnt(2)
	buffer_store_dword v5, v84, s[0:3], 0 offen offset:8
	s_waitcnt lgkmcnt(0)
	buffer_store_dword v7, v86, s[0:3], 0 offen offset:12
	buffer_store_dword v6, v86, s[0:3], 0 offen
	buffer_load_dword v0, v83, s[0:3], 0 offen
	buffer_load_dword v1, v83, s[0:3], 0 offen offset:4
	buffer_load_dword v2, v83, s[0:3], 0 offen offset:8
	buffer_load_dword v3, v83, s[0:3], 0 offen offset:12
	buffer_load_dword v4, v84, s[0:3], 0 offen offset:12
	buffer_load_dword v5, v86, s[0:3], 0 offen offset:4
	buffer_load_dword v6, v88, s[0:3], 0 offen
	buffer_load_dword v7, v88, s[0:3], 0 offen offset:12
	s_waitcnt vmcnt(7)
	ds_swizzle_b32 v0, v0 offset:swizzle(SWAP,2)
	s_waitcnt vmcnt(6)
	ds_swizzle_b32 v1, v1 offset:swizzle(SWAP,2)
	s_waitcnt vmcnt(5)
	ds_swizzle_b32 v2, v2 offset:swizzle(SWAP,2)
	s_waitcnt vmcnt(4)
	ds_swizzle_b32 v3, v3 offset:swizzle(SWAP,2)
	s_waitcnt vmcnt(3)
	ds_swizzle_b32 v4, v4 offset:swizzle(SWAP,2)
	s_waitcnt vmcnt(2)
	ds_swizzle_b32 v5, v5 offset:swizzle(SWAP,2)
	s_waitcnt vmcnt(1)
	ds_swizzle_b32 v6, v6 offset:swizzle(SWAP,2)
	s_waitcnt vmcnt(0)
	ds_swizzle_b32 v7, v7 offset:swizzle(SWAP,2)
	s_waitcnt lgkmcnt(4)
	buffer_store_dword v3, v83, s[0:3], 0 offen offset:12
	buffer_store_dword v2, v83, s[0:3], 0 offen offset:8
	buffer_store_dword v1, v83, s[0:3], 0 offen offset:4
	buffer_store_dword v0, v83, s[0:3], 0 offen
	s_waitcnt lgkmcnt(3)
	buffer_store_dword v4, v84, s[0:3], 0 offen offset:12
	s_waitcnt lgkmcnt(2)
	buffer_store_dword v5, v86, s[0:3], 0 offen offset:4
	s_waitcnt lgkmcnt(0)
	buffer_store_dword v7, v88, s[0:3], 0 offen offset:12
	buffer_store_dword v6, v88, s[0:3], 0 offen
	;; [unrolled: 36-line block ×3, first 2 shown]
	buffer_load_dword v0, v87, s[0:3], 0 offen
	buffer_load_dword v1, v87, s[0:3], 0 offen offset:4
	buffer_load_dword v2, v87, s[0:3], 0 offen offset:8
	;; [unrolled: 1-line block ×5, first 2 shown]
	buffer_load_dword v6, v91, s[0:3], 0 offen
	buffer_load_dword v7, v91, s[0:3], 0 offen offset:8
	buffer_load_dword v8, v92, s[0:3], 0 offen offset:4
	buffer_load_dword v9, v92, s[0:3], 0 offen offset:8
	buffer_load_dword v10, v92, s[0:3], 0 offen offset:12
	buffer_load_dword v11, v93, s[0:3], 0 offen
	buffer_load_dword v12, v93, s[0:3], 0 offen offset:4
	buffer_load_dword v13, v93, s[0:3], 0 offen offset:8
	;; [unrolled: 1-line block ×3, first 2 shown]
	s_waitcnt vmcnt(14)
	ds_swizzle_b32 v0, v0 offset:swizzle(SWAP,2)
	s_waitcnt vmcnt(13)
	ds_swizzle_b32 v1, v1 offset:swizzle(SWAP,2)
	;; [unrolled: 2-line block ×8, first 2 shown]
	s_waitcnt lgkmcnt(4)
	buffer_store_dword v3, v87, s[0:3], 0 offen offset:12
	buffer_store_dword v2, v87, s[0:3], 0 offen offset:8
	;; [unrolled: 1-line block ×3, first 2 shown]
	buffer_store_dword v0, v87, s[0:3], 0 offen
	s_waitcnt lgkmcnt(3)
	buffer_store_dword v4, v88, s[0:3], 0 offen offset:8
	s_waitcnt lgkmcnt(2)
	buffer_store_dword v5, v90, s[0:3], 0 offen offset:4
	;; [unrolled: 2-line block ×3, first 2 shown]
	buffer_store_dword v6, v91, s[0:3], 0 offen
	buffer_load_dword v15, v89, s[0:3], 0 offen
	buffer_load_dword v16, v89, s[0:3], 0 offen offset:4
	buffer_load_dword v17, v89, s[0:3], 0 offen offset:8
	;; [unrolled: 1-line block ×6, first 2 shown]
	buffer_load_dword v22, v92, s[0:3], 0 offen
	buffer_load_dword v23, v94, s[0:3], 0 offen
	buffer_load_dword v24, v94, s[0:3], 0 offen offset:4
	buffer_load_dword v25, v94, s[0:3], 0 offen offset:8
	;; [unrolled: 1-line block ×3, first 2 shown]
	buffer_load_dword v27, v95, s[0:3], 0 offen
	buffer_load_dword v28, v95, s[0:3], 0 offen offset:4
	buffer_load_dword v29, v95, s[0:3], 0 offen offset:8
	;; [unrolled: 1-line block ×3, first 2 shown]
	s_waitcnt vmcnt(28)
	ds_swizzle_b32 v2, v10 offset:swizzle(SWAP,1)
	ds_swizzle_b32 v1, v9 offset:swizzle(SWAP,1)
	s_waitcnt vmcnt(27)
	ds_swizzle_b32 v3, v11 offset:swizzle(SWAP,1)
	ds_swizzle_b32 v0, v8 offset:swizzle(SWAP,1)
	;; [unrolled: 3-line block ×3, first 2 shown]
	ds_swizzle_b32 v4, v12 offset:swizzle(SWAP,1)
	s_waitcnt lgkmcnt(6)
	buffer_store_dword v2, v92, s[0:3], 0 offen offset:12
	s_waitcnt lgkmcnt(5)
	buffer_store_dword v1, v92, s[0:3], 0 offen offset:8
	;; [unrolled: 2-line block ×6, first 2 shown]
	buffer_store_dword v3, v93, s[0:3], 0 offen
	buffer_load_dword v4, off, s[0:3], 0 offset:96
	s_nop 0
	buffer_load_dword v5, off, s[0:3], 0 offset:100
	buffer_load_dword v6, off, s[0:3], 0 offset:104
	buffer_load_dword v7, off, s[0:3], 0 offset:108
	buffer_load_dword v0, off, s[0:3], 0 offset:112
	buffer_load_dword v1, off, s[0:3], 0 offset:116
	buffer_load_dword v2, off, s[0:3], 0 offset:120
	buffer_load_dword v3, off, s[0:3], 0 offset:124
	s_waitcnt vmcnt(30)
	ds_swizzle_b32 v8, v15 offset:swizzle(SWAP,2)
	s_waitcnt vmcnt(29)
	ds_swizzle_b32 v9, v16 offset:swizzle(SWAP,2)
	;; [unrolled: 2-line block ×9, first 2 shown]
	s_waitcnt lgkmcnt(5)
	buffer_store_dword v11, v89, s[0:3], 0 offen offset:12
	buffer_store_dword v10, v89, s[0:3], 0 offen offset:8
	;; [unrolled: 1-line block ×3, first 2 shown]
	buffer_store_dword v8, v89, s[0:3], 0 offen
	s_waitcnt lgkmcnt(4)
	buffer_store_dword v12, v90, s[0:3], 0 offen offset:8
	s_waitcnt lgkmcnt(2)
	buffer_store_dword v14, v91, s[0:3], 0 offen offset:12
	buffer_store_dword v13, v91, s[0:3], 0 offen offset:4
	s_waitcnt lgkmcnt(1)
	buffer_store_dword v15, v92, s[0:3], 0 offen
	s_waitcnt lgkmcnt(0)
	buffer_store_dword v16, v94, s[0:3], 0 offen
	buffer_load_dword v20, v96, s[0:3], 0 offen
	buffer_load_dword v21, v96, s[0:3], 0 offen offset:4
	buffer_load_dword v22, v96, s[0:3], 0 offen offset:8
	;; [unrolled: 1-line block ×3, first 2 shown]
	buffer_load_dword v32, v97, s[0:3], 0 offen
	buffer_load_dword v33, v97, s[0:3], 0 offen offset:4
	buffer_load_dword v34, v97, s[0:3], 0 offen offset:8
	;; [unrolled: 1-line block ×3, first 2 shown]
	buffer_load_dword v60, off, s[0:3], 0
	buffer_load_dword v61, off, s[0:3], 0 offset:4
	buffer_load_dword v62, off, s[0:3], 0 offset:8
	;; [unrolled: 1-line block ×23, first 2 shown]
	s_waitcnt vmcnt(60)
	ds_swizzle_b32 v10, v26 offset:swizzle(SWAP,1)
	ds_swizzle_b32 v9, v25 offset:swizzle(SWAP,1)
	;; [unrolled: 1-line block ×3, first 2 shown]
	s_waitcnt vmcnt(56)
	ds_swizzle_b32 v14, v30 offset:swizzle(SWAP,1)
	ds_swizzle_b32 v13, v29 offset:swizzle(SWAP,1)
	;; [unrolled: 1-line block ×4, first 2 shown]
	s_waitcnt lgkmcnt(6)
	buffer_store_dword v10, v94, s[0:3], 0 offen offset:12
	s_waitcnt lgkmcnt(5)
	buffer_store_dword v9, v94, s[0:3], 0 offen offset:8
	;; [unrolled: 2-line block ×6, first 2 shown]
	buffer_store_dword v11, v95, s[0:3], 0 offen
	buffer_load_dword v28, off, s[0:3], 0 offset:128
	buffer_load_dword v29, off, s[0:3], 0 offset:132
	buffer_load_dword v30, off, s[0:3], 0 offset:136
	buffer_load_dword v31, off, s[0:3], 0 offset:140
	buffer_load_dword v12, off, s[0:3], 0 offset:144
	buffer_load_dword v13, off, s[0:3], 0 offset:148
	buffer_load_dword v14, off, s[0:3], 0 offset:152
	buffer_load_dword v15, off, s[0:3], 0 offset:156
	buffer_load_dword v16, off, s[0:3], 0 offset:160
	buffer_load_dword v17, off, s[0:3], 0 offset:164
	buffer_load_dword v18, off, s[0:3], 0 offset:168
	buffer_load_dword v19, off, s[0:3], 0 offset:172
	buffer_load_dword v8, off, s[0:3], 0 offset:176
	buffer_load_dword v9, off, s[0:3], 0 offset:180
	buffer_load_dword v10, off, s[0:3], 0 offset:184
	buffer_load_dword v11, off, s[0:3], 0 offset:188
	s_waitcnt vmcnt(54)
	ds_swizzle_b32 v20, v20 offset:swizzle(SWAP,1)
	s_waitcnt vmcnt(53)
	ds_swizzle_b32 v21, v21 offset:swizzle(SWAP,1)
	;; [unrolled: 2-line block ×8, first 2 shown]
	s_waitcnt lgkmcnt(4)
	buffer_store_dword v23, v96, s[0:3], 0 offen offset:12
	buffer_store_dword v22, v96, s[0:3], 0 offen offset:8
	;; [unrolled: 1-line block ×3, first 2 shown]
	buffer_store_dword v20, v96, s[0:3], 0 offen
	s_waitcnt lgkmcnt(0)
	buffer_store_dword v27, v97, s[0:3], 0 offen offset:12
	buffer_store_dword v26, v97, s[0:3], 0 offen offset:8
	;; [unrolled: 1-line block ×3, first 2 shown]
	buffer_store_dword v24, v97, s[0:3], 0 offen
	buffer_load_dword v36, off, s[0:3], 0 offset:192
	buffer_load_dword v37, off, s[0:3], 0 offset:196
	;; [unrolled: 1-line block ×4, first 2 shown]
	s_nop 0
	buffer_load_dword v24, off, s[0:3], 0 offset:208
	buffer_load_dword v25, off, s[0:3], 0 offset:212
	;; [unrolled: 1-line block ×12, first 2 shown]
	; wave barrier
	s_cbranch_scc1 .LBB50_2
	s_branch .LBB50_4
.LBB50_3:
	v_mov_b32_e32 v65, 0
	v_pk_mov_b32 v[22:23], 0, 0
	v_pk_mov_b32 v[62:63], 0, 0
	v_mov_b32_e32 v57, v65
	v_mov_b32_e32 v53, v65
	;; [unrolled: 1-line block ×13, first 2 shown]
	v_pk_mov_b32 v[60:61], v[64:65], v[64:65] op_sel:[0,1]
	v_pk_mov_b32 v[58:59], 0, 0
	v_pk_mov_b32 v[54:55], 0, 0
	v_pk_mov_b32 v[50:51], 0, 0
	v_pk_mov_b32 v[46:47], 0, 0
	v_pk_mov_b32 v[42:43], 0, 0
	v_pk_mov_b32 v[6:7], 0, 0
	v_pk_mov_b32 v[2:3], 0, 0
	v_pk_mov_b32 v[30:31], 0, 0
	v_pk_mov_b32 v[14:15], 0, 0
	v_pk_mov_b32 v[18:19], 0, 0
	v_pk_mov_b32 v[10:11], 0, 0
	v_pk_mov_b32 v[38:39], 0, 0
	v_mov_b32_e32 v25, v65
	v_pk_mov_b32 v[26:27], 0, 0
	v_mov_b32_e32 v33, v65
	v_pk_mov_b32 v[34:35], 0, 0
.LBB50_4:
	s_load_dwordx2 s[4:5], s[4:5], 0x0
	v_lshl_or_b32 v64, s8, 12, v64
	v_mov_b32_e32 v65, 0
	v_lshlrev_b64 v[64:65], 4, v[64:65]
	s_waitcnt lgkmcnt(0)
	v_mov_b32_e32 v66, s5
	v_add_co_u32_e32 v64, vcc, s4, v64
	v_addc_co_u32_e32 v65, vcc, v66, v65, vcc
	s_waitcnt vmcnt(62)
	global_store_dwordx4 v[64:65], v[60:63], off
	global_store_dwordx4 v[64:65], v[56:59], off offset:16
	s_waitcnt vmcnt(61)
	global_store_dwordx4 v[64:65], v[52:55], off offset:32
	s_waitcnt vmcnt(58)
	;; [unrolled: 2-line block ×4, first 2 shown]
	global_store_dwordx4 v[64:65], v[40:43], off offset:80
	global_store_dwordx4 v[64:65], v[4:7], off offset:96
	;; [unrolled: 1-line block ×3, first 2 shown]
	s_waitcnt vmcnt(44)
	global_store_dwordx4 v[64:65], v[28:31], off offset:128
	s_waitcnt vmcnt(41)
	global_store_dwordx4 v[64:65], v[12:15], off offset:144
	s_waitcnt vmcnt(38)
	global_store_dwordx4 v[64:65], v[16:19], off offset:160
	s_waitcnt vmcnt(35)
	global_store_dwordx4 v[64:65], v[8:11], off offset:176
	s_waitcnt vmcnt(24)
	global_store_dwordx4 v[64:65], v[36:39], off offset:192
	s_waitcnt vmcnt(21)
	global_store_dwordx4 v[64:65], v[24:27], off offset:208
	s_waitcnt vmcnt(18)
	global_store_dwordx4 v[64:65], v[32:35], off offset:224
	s_waitcnt vmcnt(15)
	global_store_dwordx4 v[64:65], v[20:23], off offset:240
	s_endpgm
	.section	.rodata,"a",@progbits
	.p2align	6, 0x0
	.amdhsa_kernel _Z20warp_exchange_kernelILj256ELj16ELj16EN6common25BlockedToStripedShuffleOpEnEvPT3_j
		.amdhsa_group_segment_fixed_size 0
		.amdhsa_private_segment_fixed_size 272
		.amdhsa_kernarg_size 12
		.amdhsa_user_sgpr_count 8
		.amdhsa_user_sgpr_private_segment_buffer 1
		.amdhsa_user_sgpr_dispatch_ptr 0
		.amdhsa_user_sgpr_queue_ptr 0
		.amdhsa_user_sgpr_kernarg_segment_ptr 1
		.amdhsa_user_sgpr_dispatch_id 0
		.amdhsa_user_sgpr_flat_scratch_init 1
		.amdhsa_user_sgpr_kernarg_preload_length 0
		.amdhsa_user_sgpr_kernarg_preload_offset 0
		.amdhsa_user_sgpr_private_segment_size 0
		.amdhsa_uses_dynamic_stack 0
		.amdhsa_system_sgpr_private_segment_wavefront_offset 1
		.amdhsa_system_sgpr_workgroup_id_x 1
		.amdhsa_system_sgpr_workgroup_id_y 0
		.amdhsa_system_sgpr_workgroup_id_z 0
		.amdhsa_system_sgpr_workgroup_info 0
		.amdhsa_system_vgpr_workitem_id 0
		.amdhsa_next_free_vgpr 98
		.amdhsa_next_free_sgpr 10
		.amdhsa_accum_offset 100
		.amdhsa_reserve_vcc 1
		.amdhsa_reserve_flat_scratch 0
		.amdhsa_float_round_mode_32 0
		.amdhsa_float_round_mode_16_64 0
		.amdhsa_float_denorm_mode_32 3
		.amdhsa_float_denorm_mode_16_64 3
		.amdhsa_dx10_clamp 1
		.amdhsa_ieee_mode 1
		.amdhsa_fp16_overflow 0
		.amdhsa_tg_split 0
		.amdhsa_exception_fp_ieee_invalid_op 0
		.amdhsa_exception_fp_denorm_src 0
		.amdhsa_exception_fp_ieee_div_zero 0
		.amdhsa_exception_fp_ieee_overflow 0
		.amdhsa_exception_fp_ieee_underflow 0
		.amdhsa_exception_fp_ieee_inexact 0
		.amdhsa_exception_int_div_zero 0
	.end_amdhsa_kernel
	.section	.text._Z20warp_exchange_kernelILj256ELj16ELj16EN6common25BlockedToStripedShuffleOpEnEvPT3_j,"axG",@progbits,_Z20warp_exchange_kernelILj256ELj16ELj16EN6common25BlockedToStripedShuffleOpEnEvPT3_j,comdat
.Lfunc_end50:
	.size	_Z20warp_exchange_kernelILj256ELj16ELj16EN6common25BlockedToStripedShuffleOpEnEvPT3_j, .Lfunc_end50-_Z20warp_exchange_kernelILj256ELj16ELj16EN6common25BlockedToStripedShuffleOpEnEvPT3_j
                                        ; -- End function
	.section	.AMDGPU.csdata,"",@progbits
; Kernel info:
; codeLenInByte = 6228
; NumSgprs: 14
; NumVgprs: 98
; NumAgprs: 0
; TotalNumVgprs: 98
; ScratchSize: 272
; MemoryBound: 0
; FloatMode: 240
; IeeeMode: 1
; LDSByteSize: 0 bytes/workgroup (compile time only)
; SGPRBlocks: 1
; VGPRBlocks: 12
; NumSGPRsForWavesPerEU: 14
; NumVGPRsForWavesPerEU: 98
; AccumOffset: 100
; Occupancy: 4
; WaveLimiterHint : 0
; COMPUTE_PGM_RSRC2:SCRATCH_EN: 1
; COMPUTE_PGM_RSRC2:USER_SGPR: 8
; COMPUTE_PGM_RSRC2:TRAP_HANDLER: 0
; COMPUTE_PGM_RSRC2:TGID_X_EN: 1
; COMPUTE_PGM_RSRC2:TGID_Y_EN: 0
; COMPUTE_PGM_RSRC2:TGID_Z_EN: 0
; COMPUTE_PGM_RSRC2:TIDIG_COMP_CNT: 0
; COMPUTE_PGM_RSRC3_GFX90A:ACCUM_OFFSET: 24
; COMPUTE_PGM_RSRC3_GFX90A:TG_SPLIT: 0
	.section	.text._Z20warp_exchange_kernelILj256ELj16ELj32EN6common25BlockedToStripedShuffleOpEnEvPT3_j,"axG",@progbits,_Z20warp_exchange_kernelILj256ELj16ELj32EN6common25BlockedToStripedShuffleOpEnEvPT3_j,comdat
	.protected	_Z20warp_exchange_kernelILj256ELj16ELj32EN6common25BlockedToStripedShuffleOpEnEvPT3_j ; -- Begin function _Z20warp_exchange_kernelILj256ELj16ELj32EN6common25BlockedToStripedShuffleOpEnEvPT3_j
	.globl	_Z20warp_exchange_kernelILj256ELj16ELj32EN6common25BlockedToStripedShuffleOpEnEvPT3_j
	.p2align	8
	.type	_Z20warp_exchange_kernelILj256ELj16ELj32EN6common25BlockedToStripedShuffleOpEnEvPT3_j,@function
_Z20warp_exchange_kernelILj256ELj16ELj32EN6common25BlockedToStripedShuffleOpEnEvPT3_j: ; @_Z20warp_exchange_kernelILj256ELj16ELj32EN6common25BlockedToStripedShuffleOpEnEvPT3_j
; %bb.0:
	s_load_dword s6, s[4:5], 0x8
	s_add_u32 s0, s0, s9
	s_addc_u32 s1, s1, 0
	v_lshlrev_b32_e32 v64, 4, v0
	v_or_b32_e32 v56, 1, v64
	v_or_b32_e32 v44, 2, v64
	;; [unrolled: 1-line block ×14, first 2 shown]
	s_waitcnt lgkmcnt(0)
	s_cmp_eq_u32 s6, 0
	v_or_b32_e32 v16, 15, v64
	v_mov_b32_e32 v65, 0
	s_cbranch_scc1 .LBB51_4
; %bb.1:
	v_mbcnt_lo_u32_b32 v2, -1, 0
	v_mbcnt_hi_u32_b32 v2, -1, v2
	v_and_b32_e32 v3, 3, v2
	v_mov_b32_e32 v6, 0
	v_lshl_add_u32 v33, v3, 4, v6
	v_add_u32_e32 v7, -1, v2
	v_xor_b32_e32 v3, 2, v3
	v_and_b32_e32 v7, 3, v7
	v_lshl_add_u32 v67, v3, 4, v6
	v_add_u32_e32 v3, 3, v3
	v_lshl_add_u32 v66, v7, 4, v6
	v_and_b32_e32 v7, 3, v3
	v_lshlrev_b32_e32 v3, 4, v3
	v_lshl_add_u32 v68, v7, 4, v6
	v_or_b32_e32 v6, 64, v3
	v_or_b32_e32 v3, 0xc0, v3
	v_add_u32_e32 v69, 0, v6
	v_add_u32_e32 v70, 0, v3
	v_and_b32_e32 v3, 0x60, v2
	v_add_u32_e32 v6, 28, v2
	v_and_or_b32 v6, v6, 31, v3
	v_lshlrev_b32_e32 v71, 2, v6
	v_add_u32_e32 v6, 24, v2
	v_and_or_b32 v6, v6, 31, v3
	v_lshlrev_b32_e32 v72, 2, v6
	;; [unrolled: 3-line block ×3, first 2 shown]
	v_lshlrev_b32_e32 v6, 2, v2
	v_xor_b32_e32 v74, 64, v6
	v_add_u32_e32 v6, 12, v2
	v_and_or_b32 v6, v6, 31, v3
	v_lshlrev_b32_e32 v75, 2, v6
	v_add_u32_e32 v6, 8, v2
	v_and_or_b32 v6, v6, 31, v3
	v_lshlrev_b32_e32 v76, 2, v6
	;; [unrolled: 3-line block ×3, first 2 shown]
	v_lshrrev_b32_e32 v3, 2, v2
	v_add_u32_e32 v7, -1, v3
	v_mov_b32_e32 v6, 0x100
	v_and_b32_e32 v7, 7, v7
	v_bfe_u32 v2, v2, 2, 3
	v_lshl_add_u32 v79, v7, 4, v6
	v_add_u32_e32 v7, 6, v3
	v_add_u32_e32 v3, 5, v3
	v_lshl_add_u32 v78, v2, 4, v6
	v_and_b32_e32 v3, 7, v3
	v_xor_b32_e32 v2, 4, v2
	v_and_b32_e32 v7, 7, v7
	v_lshl_add_u32 v81, v3, 4, v6
	v_add_u32_e32 v3, 7, v2
	v_lshl_add_u32 v80, v7, 4, v6
	v_and_b32_e32 v7, 7, v3
	v_lshl_add_u32 v83, v7, 4, v6
	v_mov_b32_e32 v7, 0x80
	v_lshl_or_b32 v3, v3, 4, v7
	v_add_u32_e32 v84, 0x100, v3
	v_add_u32_e32 v3, 6, v2
	v_lshl_add_u32 v82, v2, 4, v6
	v_and_b32_e32 v10, 7, v3
	v_lshl_or_b32 v3, v3, 4, v7
	v_add_u32_e32 v2, 5, v2
	v_add_u32_e32 v86, 0x100, v3
	v_and_b32_e32 v3, 7, v2
	v_lshl_or_b32 v2, v2, 4, v7
	v_mov_b32_e32 v17, v65
	v_pk_mov_b32 v[18:19], 0, 0
	v_mov_b32_e32 v29, v65
	v_mov_b32_e32 v49, v65
	;; [unrolled: 1-line block ×8, first 2 shown]
	v_lshl_add_u32 v85, v10, 4, v6
	v_lshl_add_u32 v87, v3, 4, v6
	v_add_u32_e32 v88, 0x100, v2
	v_pk_mov_b32 v[30:31], 0, 0
	v_pk_mov_b32 v[50:51], 0, 0
	;; [unrolled: 1-line block ×8, first 2 shown]
	v_mov_b32_e32 v34, v65
	v_mov_b32_e32 v35, v65
	;; [unrolled: 1-line block ×6, first 2 shown]
	v_pk_mov_b32 v[54:55], 0, 0
	v_mov_b32_e32 v41, v65
	v_mov_b32_e32 v42, v65
	v_mov_b32_e32 v43, v65
	v_mov_b32_e32 v45, v65
	v_mov_b32_e32 v46, v65
	v_mov_b32_e32 v47, v65
	v_mov_b32_e32 v57, v65
	v_mov_b32_e32 v58, v65
	v_mov_b32_e32 v59, v65
	v_pk_mov_b32 v[62:63], 0, 0
	v_pk_mov_b32 v[60:61], v[64:65], v[64:65] op_sel:[0,1]
.LBB51_2:                               ; =>This Inner Loop Header: Depth=1
	buffer_store_dword v61, off, s[0:3], 0 offset:4
	buffer_store_dword v60, off, s[0:3], 0
	buffer_store_dword v63, off, s[0:3], 0 offset:12
	buffer_store_dword v62, off, s[0:3], 0 offset:8
	s_waitcnt lgkmcnt(14)
	buffer_store_dword v53, off, s[0:3], 0 offset:68
	buffer_store_dword v52, off, s[0:3], 0 offset:64
	;; [unrolled: 1-line block ×4, first 2 shown]
	s_waitcnt lgkmcnt(10)
	buffer_store_dword v49, off, s[0:3], 0 offset:212
	buffer_store_dword v48, off, s[0:3], 0 offset:208
	s_waitcnt lgkmcnt(8)
	buffer_store_dword v51, off, s[0:3], 0 offset:220
	buffer_store_dword v50, off, s[0:3], 0 offset:216
	;; [unrolled: 3-line block ×3, first 2 shown]
	s_waitcnt lgkmcnt(4)
	buffer_store_dword v31, off, s[0:3], 0 offset:236
	s_waitcnt vmcnt(15)
	v_mov_b32_dpp v28, v56 quad_perm:[3,0,1,2] row_mask:0xf bank_mask:0xf
	v_mov_b32_dpp v48, v59 quad_perm:[3,0,1,2] row_mask:0xf bank_mask:0xf
	v_mov_b32_dpp v29, v57 quad_perm:[3,0,1,2] row_mask:0xf bank_mask:0xf
	v_mov_b32_dpp v31, v58 quad_perm:[3,0,1,2] row_mask:0xf bank_mask:0xf
	buffer_store_dword v48, off, s[0:3], 0 offset:28
	buffer_store_dword v31, off, s[0:3], 0 offset:24
	buffer_store_dword v29, off, s[0:3], 0 offset:20
	buffer_store_dword v28, off, s[0:3], 0 offset:16
	v_mov_b32_dpp v28, v44 quad_perm:[2,3,0,1] row_mask:0xf bank_mask:0xf
	v_mov_b32_dpp v44, v47 quad_perm:[2,3,0,1] row_mask:0xf bank_mask:0xf
	v_mov_b32_dpp v29, v45 quad_perm:[2,3,0,1] row_mask:0xf bank_mask:0xf
	v_mov_b32_dpp v31, v46 quad_perm:[2,3,0,1] row_mask:0xf bank_mask:0xf
	buffer_store_dword v44, off, s[0:3], 0 offset:44
	buffer_store_dword v31, off, s[0:3], 0 offset:40
	buffer_store_dword v29, off, s[0:3], 0 offset:36
	buffer_store_dword v28, off, s[0:3], 0 offset:32
	v_mov_b32_dpp v28, v40 quad_perm:[1,2,3,0] row_mask:0xf bank_mask:0xf
	v_mov_b32_dpp v40, v43 quad_perm:[1,2,3,0] row_mask:0xf bank_mask:0xf
	v_mov_b32_dpp v29, v41 quad_perm:[1,2,3,0] row_mask:0xf bank_mask:0xf
	v_mov_b32_dpp v31, v42 quad_perm:[1,2,3,0] row_mask:0xf bank_mask:0xf
	buffer_store_dword v40, off, s[0:3], 0 offset:60
	buffer_store_dword v31, off, s[0:3], 0 offset:56
	buffer_store_dword v29, off, s[0:3], 0 offset:52
	buffer_store_dword v28, off, s[0:3], 0 offset:48
	v_mov_b32_dpp v28, v36 quad_perm:[3,0,1,2] row_mask:0xf bank_mask:0xf
	v_mov_b32_dpp v36, v39 quad_perm:[3,0,1,2] row_mask:0xf bank_mask:0xf
	v_mov_b32_dpp v29, v37 quad_perm:[3,0,1,2] row_mask:0xf bank_mask:0xf
	v_mov_b32_dpp v31, v38 quad_perm:[3,0,1,2] row_mask:0xf bank_mask:0xf
	buffer_store_dword v36, off, s[0:3], 0 offset:92
	buffer_store_dword v31, off, s[0:3], 0 offset:88
	buffer_store_dword v29, off, s[0:3], 0 offset:84
	buffer_store_dword v28, off, s[0:3], 0 offset:80
	v_mov_b32_dpp v28, v32 quad_perm:[2,3,0,1] row_mask:0xf bank_mask:0xf
	v_mov_b32_dpp v32, v35 quad_perm:[2,3,0,1] row_mask:0xf bank_mask:0xf
	;; [unrolled: 1-line block ×4, first 2 shown]
	buffer_load_dword v34, v68, s[0:3], 0 offen offset:12
	s_nop 0
	buffer_store_dword v32, off, s[0:3], 0 offset:108
	buffer_store_dword v31, off, s[0:3], 0 offset:104
	buffer_load_dword v31, off, s[0:3], 0 offset:208
	s_nop 0
	buffer_load_dword v32, off, s[0:3], 0 offset:212
	buffer_load_dword v35, off, s[0:3], 0 offset:216
	s_nop 0
	buffer_store_dword v29, off, s[0:3], 0 offset:100
	buffer_store_dword v28, off, s[0:3], 0 offset:96
	v_mov_b32_dpp v25, v25 quad_perm:[1,2,3,0] row_mask:0xf bank_mask:0xf
	v_mov_b32_dpp v24, v24 quad_perm:[1,2,3,0] row_mask:0xf bank_mask:0xf
	buffer_load_dword v28, off, s[0:3], 0 offset:220
	v_mov_b32_dpp v27, v27 quad_perm:[1,2,3,0] row_mask:0xf bank_mask:0xf
	buffer_store_dword v25, off, s[0:3], 0 offset:116
	buffer_store_dword v24, off, s[0:3], 0 offset:112
	v_mov_b32_dpp v26, v26 quad_perm:[1,2,3,0] row_mask:0xf bank_mask:0xf
	buffer_load_dword v24, off, s[0:3], 0 offset:224
	s_nop 0
	buffer_store_dword v27, off, s[0:3], 0 offset:124
	buffer_store_dword v26, off, s[0:3], 0 offset:120
	;; [unrolled: 1-line block ×3, first 2 shown]
	buffer_load_dword v25, v69, s[0:3], 0 offen offset:12
	s_nop 0
	buffer_load_dword v26, off, s[0:3], 0 offset:228
	buffer_load_dword v27, off, s[0:3], 0 offset:232
	;; [unrolled: 1-line block ×3, first 2 shown]
	s_waitcnt lgkmcnt(0)
	buffer_store_dword v19, off, s[0:3], 0 offset:252
	buffer_store_dword v18, off, s[0:3], 0 offset:248
	buffer_load_dword v18, off, s[0:3], 0 offset:248
	s_nop 0
	buffer_load_dword v19, off, s[0:3], 0 offset:252
	buffer_load_dword v30, v68, s[0:3], 0 offen
	s_nop 0
	buffer_store_dword v3, off, s[0:3], 0 offset:188
	buffer_store_dword v21, off, s[0:3], 0 offset:196
	;; [unrolled: 1-line block ×7, first 2 shown]
	buffer_load_dword v20, v69, s[0:3], 0 offen
	buffer_load_dword v21, v68, s[0:3], 0 offen offset:8
	v_mov_b32_dpp v16, v16 quad_perm:[1,2,3,0] row_mask:0xf bank_mask:0xf
	v_mov_b32_dpp v17, v17 quad_perm:[1,2,3,0] row_mask:0xf bank_mask:0xf
	v_mov_b32_dpp v9, v9 quad_perm:[3,0,1,2] row_mask:0xf bank_mask:0xf
	v_mov_b32_dpp v8, v8 quad_perm:[3,0,1,2] row_mask:0xf bank_mask:0xf
	v_mov_b32_dpp v10, v10 quad_perm:[3,0,1,2] row_mask:0xf bank_mask:0xf
	v_mov_b32_dpp v11, v11 quad_perm:[3,0,1,2] row_mask:0xf bank_mask:0xf
	s_add_i32 s6, s6, -1
	s_cmp_eq_u32 s6, 0
	s_waitcnt vmcnt(29)
	v_mov_b32_dpp v22, v31 quad_perm:[3,0,1,2] row_mask:0xf bank_mask:0xf
	v_mov_b32_dpp v3, v34 quad_perm:[3,0,1,2] row_mask:0xf bank_mask:0xf
	buffer_store_dword v3, off, s[0:3], 0 offset:460
	buffer_load_dword v3, off, s[0:3], 0 offset:460
	s_waitcnt vmcnt(30)
	v_mov_b32_dpp v23, v32 quad_perm:[3,0,1,2] row_mask:0xf bank_mask:0xf
	s_waitcnt vmcnt(29)
	v_mov_b32_dpp v31, v35 quad_perm:[3,0,1,2] row_mask:0xf bank_mask:0xf
	buffer_load_dword v32, v33, s[0:3], 0 offen
	buffer_load_dword v34, v33, s[0:3], 0 offen offset:64
	buffer_load_dword v35, v33, s[0:3], 0 offen offset:76
	buffer_load_dword v36, v66, s[0:3], 0 offen
	s_waitcnt vmcnt(30)
	v_mov_b32_dpp v28, v28 quad_perm:[3,0,1,2] row_mask:0xf bank_mask:0xf
	buffer_store_dword v22, off, s[0:3], 0 offset:208
	buffer_store_dword v23, off, s[0:3], 0 offset:212
	;; [unrolled: 1-line block ×4, first 2 shown]
	s_waitcnt vmcnt(31)
	v_mov_b32_dpp v22, v24 quad_perm:[2,3,0,1] row_mask:0xf bank_mask:0xf
	buffer_load_dword v23, v33, s[0:3], 0 offen offset:4
	buffer_load_dword v24, v69, s[0:3], 0 offen offset:8
	s_waitcnt vmcnt(28)
	v_mov_b32_dpp v26, v26 quad_perm:[2,3,0,1] row_mask:0xf bank_mask:0xf
	buffer_store_dword v25, off, s[0:3], 0 offset:476
	buffer_load_dword v25, off, s[0:3], 0 offset:476
	s_waitcnt vmcnt(24)
	v_mov_b32_dpp v19, v19 quad_perm:[1,2,3,0] row_mask:0xf bank_mask:0xf
	v_mov_b32_dpp v27, v27 quad_perm:[2,3,0,1] row_mask:0xf bank_mask:0xf
	;; [unrolled: 1-line block ×3, first 2 shown]
	buffer_store_dword v22, off, s[0:3], 0 offset:224
	buffer_store_dword v26, off, s[0:3], 0 offset:228
	;; [unrolled: 1-line block ×4, first 2 shown]
	v_mov_b32_dpp v18, v18 quad_perm:[1,2,3,0] row_mask:0xf bank_mask:0xf
	buffer_store_dword v19, off, s[0:3], 0 offset:252
	buffer_store_dword v18, off, s[0:3], 0 offset:248
	buffer_store_dword v17, off, s[0:3], 0 offset:244
	buffer_store_dword v16, off, s[0:3], 0 offset:240
	buffer_load_dword v16, v67, s[0:3], 0 offen offset:200
	s_waitcnt vmcnt(32)
	v_mov_b32_dpp v26, v30 quad_perm:[3,0,1,2] row_mask:0xf bank_mask:0xf
	buffer_store_dword v2, off, s[0:3], 0 offset:184
	buffer_load_dword v2, off, s[0:3], 0 offset:184
	s_nop 0
	buffer_load_dword v17, off, s[0:3], 0 offset:188
	buffer_load_dword v18, v68, s[0:3], 0 offen offset:4
	buffer_load_dword v19, v67, s[0:3], 0 offen offset:204
	;; [unrolled: 1-line block ×3, first 2 shown]
	s_waitcnt vmcnt(29)
	v_mov_b32_dpp v21, v21 quad_perm:[3,0,1,2] row_mask:0xf bank_mask:0xf
	buffer_store_dword v26, off, s[0:3], 0 offset:448
	buffer_load_dword v26, off, s[0:3], 0 offset:448
	s_nop 0
	buffer_store_dword v13, off, s[0:3], 0 offset:132
	buffer_store_dword v12, off, s[0:3], 0 offset:128
	;; [unrolled: 1-line block ×10, first 2 shown]
	v_mov_b32_dpp v7, v7 quad_perm:[2,3,0,1] row_mask:0xf bank_mask:0xf
	buffer_store_dword v9, off, s[0:3], 0 offset:148
	buffer_store_dword v8, off, s[0:3], 0 offset:144
	;; [unrolled: 1-line block ×4, first 2 shown]
	v_mov_b32_dpp v4, v4 quad_perm:[2,3,0,1] row_mask:0xf bank_mask:0xf
	v_mov_b32_dpp v5, v5 quad_perm:[2,3,0,1] row_mask:0xf bank_mask:0xf
	;; [unrolled: 1-line block ×3, first 2 shown]
	buffer_store_dword v7, off, s[0:3], 0 offset:172
	buffer_store_dword v6, off, s[0:3], 0 offset:168
	;; [unrolled: 1-line block ×4, first 2 shown]
	buffer_load_dword v4, v33, s[0:3], 0 offen offset:192
	s_nop 0
	buffer_load_dword v5, v33, s[0:3], 0 offen offset:196
	buffer_load_dword v6, v33, s[0:3], 0 offen offset:200
	;; [unrolled: 1-line block ×7, first 2 shown]
	buffer_load_dword v12, v67, s[0:3], 0 offen
	buffer_load_dword v13, v67, s[0:3], 0 offen offset:4
	buffer_load_dword v14, v67, s[0:3], 0 offen offset:8
	;; [unrolled: 1-line block ×6, first 2 shown]
	buffer_load_dword v30, v70, s[0:3], 0 offen
	v_mov_b32_dpp v0, v0 quad_perm:[1,2,3,0] row_mask:0xf bank_mask:0xf
	v_mov_b32_dpp v1, v1 quad_perm:[1,2,3,0] row_mask:0xf bank_mask:0xf
	buffer_store_dword v0, off, s[0:3], 0 offset:176
	s_waitcnt vmcnt(52)
	v_mov_b32_dpp v25, v25 quad_perm:[3,0,1,2] row_mask:0xf bank_mask:0xf
	s_waitcnt vmcnt(41)
	v_mov_b32_dpp v2, v2 quad_perm:[1,2,3,0] row_mask:0xf bank_mask:0xf
	buffer_store_dword v16, off, s[0:3], 0 offset:440
	buffer_load_dword v16, off, s[0:3], 0 offset:440
	s_waitcnt vmcnt(42)
	v_mov_b32_dpp v17, v17 quad_perm:[1,2,3,0] row_mask:0xf bank_mask:0xf
	buffer_load_dword v0, v66, s[0:3], 0 offen offset:4
	buffer_load_dword v31, v66, s[0:3], 0 offen offset:8
	;; [unrolled: 1-line block ×3, first 2 shown]
	s_nop 0
	buffer_store_dword v1, off, s[0:3], 0 offset:180
	buffer_store_dword v2, off, s[0:3], 0 offset:184
	;; [unrolled: 1-line block ×3, first 2 shown]
	buffer_load_dword v1, v68, s[0:3], 0 offen offset:140
	s_nop 0
	buffer_load_dword v2, v69, s[0:3], 0 offen offset:4
	buffer_load_dword v17, v33, s[0:3], 0 offen offset:8
	;; [unrolled: 1-line block ×19, first 2 shown]
	s_nop 0
	buffer_store_dword v35, off, s[0:3], 0 offset:284
	buffer_store_dword v34, off, s[0:3], 0 offset:272
	buffer_load_dword v35, v68, s[0:3], 0 offen offset:128
	s_waitcnt vmcnt(62)
	v_mov_b32_dpp v18, v18 quad_perm:[3,0,1,2] row_mask:0xf bank_mask:0xf
	buffer_store_dword v20, off, s[0:3], 0 offset:464
	v_mov_b32_dpp v20, v20 quad_perm:[3,0,1,2] row_mask:0xf bank_mask:0xf
	buffer_store_dword v24, off, s[0:3], 0 offset:472
	;; [unrolled: 2-line block ×3, first 2 shown]
	buffer_store_dword v18, off, s[0:3], 0 offset:452
	buffer_store_dword v20, off, s[0:3], 0 offset:464
	;; [unrolled: 1-line block ×3, first 2 shown]
	buffer_load_dword v18, v66, s[0:3], 0 offen offset:64
	s_waitcnt vmcnt(51)
	buffer_store_dword v7, off, s[0:3], 0 offset:316
	buffer_store_dword v6, off, s[0:3], 0 offset:312
	;; [unrolled: 1-line block ×4, first 2 shown]
	s_waitcnt vmcnt(51)
	buffer_store_dword v11, off, s[0:3], 0 offset:380
	buffer_store_dword v8, off, s[0:3], 0 offset:508
	buffer_load_dword v4, off, s[0:3], 0 offset:508
	s_nop 0
	buffer_store_dword v10, off, s[0:3], 0 offset:376
	buffer_store_dword v9, off, s[0:3], 0 offset:372
	s_waitcnt vmcnt(52)
	buffer_store_dword v15, off, s[0:3], 0 offset:396
	buffer_store_dword v14, off, s[0:3], 0 offset:392
	;; [unrolled: 1-line block ×5, first 2 shown]
	buffer_load_dword v5, off, s[0:3], 0 offset:444
	s_waitcnt vmcnt(57)
	buffer_store_dword v27, off, s[0:3], 0 offset:400
	buffer_store_dword v22, off, s[0:3], 0 offset:436
	s_waitcnt vmcnt(58)
	buffer_store_dword v28, off, s[0:3], 0 offset:504
	s_waitcnt vmcnt(58)
	;; [unrolled: 2-line block ×3, first 2 shown]
	buffer_store_dword v30, off, s[0:3], 0 offset:496
	v_mov_b32_dpp v8, v30 quad_perm:[3,0,1,2] row_mask:0xf bank_mask:0xf
	v_mov_b32_dpp v20, v29 quad_perm:[3,0,1,2] row_mask:0xf bank_mask:0xf
	;; [unrolled: 1-line block ×4, first 2 shown]
	s_waitcnt vmcnt(49)
	buffer_store_dword v1, off, s[0:3], 0 offset:492
	buffer_load_dword v1, off, s[0:3], 0 offset:492
	s_nop 0
	buffer_load_dword v9, v33, s[0:3], 0 offen offset:12
	buffer_load_dword v10, v66, s[0:3], 0 offen offset:140
	;; [unrolled: 1-line block ×8, first 2 shown]
	v_mov_b32_dpp v0, v0 quad_perm:[1,2,3,0] row_mask:0xf bank_mask:0xf
	v_mov_b32_dpp v6, v31 quad_perm:[1,2,3,0] row_mask:0xf bank_mask:0xf
	;; [unrolled: 1-line block ×3, first 2 shown]
	buffer_store_dword v7, off, s[0:3], 0 offset:332
	buffer_store_dword v6, off, s[0:3], 0 offset:328
	;; [unrolled: 1-line block ×5, first 2 shown]
	s_waitcnt vmcnt(62)
	buffer_store_dword v2, off, s[0:3], 0 offset:468
	v_mov_b32_dpp v2, v2 quad_perm:[3,0,1,2] row_mask:0xf bank_mask:0xf
	buffer_store_dword v17, off, s[0:3], 0 offset:264
	s_waitcnt vmcnt(62)
	buffer_store_dword v38, off, s[0:3], 0 offset:280
	buffer_store_dword v39, off, s[0:3], 0 offset:276
	s_waitcnt vmcnt(62)
	buffer_store_dword v40, off, s[0:3], 0 offset:412
	buffer_store_dword v41, off, s[0:3], 0 offset:368
	;; [unrolled: 1-line block ×3, first 2 shown]
	v_mov_b32_dpp v2, v16 quad_perm:[2,3,0,1] row_mask:0xf bank_mask:0xf
	buffer_store_dword v2, off, s[0:3], 0 offset:440
	s_waitcnt vmcnt(62)
	buffer_store_dword v43, off, s[0:3], 0 offset:408
	buffer_store_dword v44, off, s[0:3], 0 offset:404
	buffer_store_dword v45, off, s[0:3], 0 offset:300
	s_waitcnt vmcnt(62)
	buffer_store_dword v46, off, s[0:3], 0 offset:296
	buffer_store_dword v47, off, s[0:3], 0 offset:292
	;; [unrolled: 4-line block ×3, first 2 shown]
	s_waitcnt vmcnt(62)
	buffer_store_dword v52, off, s[0:3], 0 offset:420
	buffer_store_dword v42, off, s[0:3], 0 offset:416
	;; [unrolled: 1-line block ×4, first 2 shown]
	s_waitcnt vmcnt(62)
	buffer_store_dword v54, off, s[0:3], 0 offset:484
	buffer_load_dword v2, off, s[0:3], 0 offset:368
	buffer_load_dword v6, off, s[0:3], 0 offset:372
	;; [unrolled: 1-line block ×4, first 2 shown]
	v_mov_b32_dpp v16, v35 quad_perm:[3,0,1,2] row_mask:0xf bank_mask:0xf
	buffer_store_dword v35, off, s[0:3], 0 offset:480
	buffer_load_dword v21, off, s[0:3], 0 offset:384
	buffer_load_dword v22, off, s[0:3], 0 offset:392
	;; [unrolled: 1-line block ×10, first 2 shown]
	v_mov_b32_dpp v20, v53 quad_perm:[3,0,1,2] row_mask:0xf bank_mask:0xf
	v_mov_b32_dpp v17, v54 quad_perm:[3,0,1,2] row_mask:0xf bank_mask:0xf
	buffer_store_dword v20, off, s[0:3], 0 offset:488
	buffer_store_dword v17, off, s[0:3], 0 offset:484
	;; [unrolled: 1-line block ×3, first 2 shown]
	s_waitcnt vmcnt(62)
	v_mov_b32_dpp v4, v4 quad_perm:[3,0,1,2] row_mask:0xf bank_mask:0xf
	buffer_load_dword v16, off, s[0:3], 0 offset:500
	buffer_load_dword v17, off, s[0:3], 0 offset:452
	buffer_load_dword v20, off, s[0:3], 0 offset:464
	buffer_load_dword v37, off, s[0:3], 0 offset:472
	buffer_load_dword v38, off, s[0:3], 0 offset:480
	buffer_load_dword v39, off, s[0:3], 0 offset:488
	buffer_load_dword v40, off, s[0:3], 0 offset:496
	buffer_load_dword v41, off, s[0:3], 0 offset:440
	s_waitcnt vmcnt(62)
	v_mov_b32_dpp v5, v5 quad_perm:[2,3,0,1] row_mask:0xf bank_mask:0xf
	buffer_store_dword v4, off, s[0:3], 0 offset:508
	buffer_store_dword v5, off, s[0:3], 0 offset:444
	buffer_load_dword v4, off, s[0:3], 0 offset:444
	s_nop 0
	buffer_load_dword v5, off, s[0:3], 0 offset:456
	buffer_load_dword v42, off, s[0:3], 0 offset:468
	s_waitcnt vmcnt(62)
	v_mov_b32_dpp v10, v10 quad_perm:[1,2,3,0] row_mask:0xf bank_mask:0xf
	buffer_store_dword v25, off, s[0:3], 0 offset:476
	buffer_load_dword v25, off, s[0:3], 0 offset:476
	s_nop 0
	buffer_load_dword v43, off, s[0:3], 0 offset:484
	s_waitcnt vmcnt(62)
	v_mov_b32_dpp v13, v13 quad_perm:[1,2,3,0] row_mask:0xf bank_mask:0xf
	v_mov_b32_dpp v14, v14 quad_perm:[1,2,3,0] row_mask:0xf bank_mask:0xf
	;; [unrolled: 1-line block ×3, first 2 shown]
	buffer_store_dword v1, off, s[0:3], 0 offset:492
	buffer_load_dword v1, off, s[0:3], 0 offset:492
	s_nop 0
	buffer_load_dword v44, off, s[0:3], 0 offset:504
	buffer_load_dword v45, off, s[0:3], 0 offset:508
	s_nop 0
	buffer_store_dword v9, off, s[0:3], 0 offset:268
	buffer_store_dword v0, off, s[0:3], 0 offset:324
	;; [unrolled: 1-line block ×3, first 2 shown]
	v_mov_b32_dpp v0, v18 quad_perm:[1,2,3,0] row_mask:0xf bank_mask:0xf
	s_waitcnt vmcnt(62)
	v_mov_b32_dpp v9, v19 quad_perm:[1,2,3,0] row_mask:0xf bank_mask:0xf
	buffer_load_dword v18, off, s[0:3], 0 offset:388
	buffer_load_dword v19, off, s[0:3], 0 offset:432
	;; [unrolled: 1-line block ×3, first 2 shown]
	v_mov_b32_dpp v15, v15 quad_perm:[1,2,3,0] row_mask:0xf bank_mask:0xf
	buffer_store_dword v14, off, s[0:3], 0 offset:348
	buffer_store_dword v15, off, s[0:3], 0 offset:344
	;; [unrolled: 1-line block ×4, first 2 shown]
	buffer_load_dword v0, off, s[0:3], 0 offset:396
	s_nop 0
	buffer_load_dword v9, off, s[0:3], 0 offset:272
	buffer_load_dword v14, off, s[0:3], 0 offset:276
	;; [unrolled: 1-line block ×8, first 2 shown]
	v_mov_b32_dpp v12, v12 quad_perm:[1,2,3,0] row_mask:0xf bank_mask:0xf
	v_mov_b32_dpp v11, v11 quad_perm:[1,2,3,0] row_mask:0xf bank_mask:0xf
	buffer_store_dword v10, off, s[0:3], 0 offset:364
	buffer_store_dword v11, off, s[0:3], 0 offset:360
	;; [unrolled: 1-line block ×4, first 2 shown]
	buffer_load_dword v10, off, s[0:3], 0 offset:304
	s_nop 0
	buffer_load_dword v11, off, s[0:3], 0 offset:308
	buffer_load_dword v12, off, s[0:3], 0 offset:312
	;; [unrolled: 1-line block ×7, first 2 shown]
	s_waitcnt vmcnt(62)
	v_mov_b32_dpp v21, v21 quad_perm:[2,3,0,1] row_mask:0xf bank_mask:0xf
	v_mov_b32_dpp v22, v22 quad_perm:[2,3,0,1] row_mask:0xf bank_mask:0xf
	s_waitcnt vmcnt(61)
	v_mov_b32_dpp v24, v24 quad_perm:[2,3,0,1] row_mask:0xf bank_mask:0xf
	v_mov_b32_dpp v2, v2 quad_perm:[1,2,3,0] row_mask:0xf bank_mask:0xf
	;; [unrolled: 1-line block ×5, first 2 shown]
	buffer_store_dword v8, off, s[0:3], 0 offset:380
	buffer_store_dword v7, off, s[0:3], 0 offset:376
	;; [unrolled: 1-line block ×4, first 2 shown]
	buffer_load_dword v2, off, s[0:3], 0 offset:336
	s_nop 0
	buffer_load_dword v6, off, s[0:3], 0 offset:340
	buffer_load_dword v7, off, s[0:3], 0 offset:344
	buffer_load_dword v8, off, s[0:3], 0 offset:348
	buffer_load_dword v55, off, s[0:3], 0 offset:352
	buffer_load_dword v56, off, s[0:3], 0 offset:356
	buffer_load_dword v57, off, s[0:3], 0 offset:360
	buffer_load_dword v58, off, s[0:3], 0 offset:364
	s_waitcnt vmcnt(62)
	v_mov_b32_dpp v27, v27 quad_perm:[2,3,0,1] row_mask:0xf bank_mask:0xf
	buffer_store_dword v27, off, s[0:3], 0 offset:404
	buffer_store_dword v24, off, s[0:3], 0 offset:400
	buffer_load_dword v24, off, s[0:3], 0 offset:368
	s_nop 0
	buffer_load_dword v27, off, s[0:3], 0 offset:372
	buffer_load_dword v59, off, s[0:3], 0 offset:376
	;; [unrolled: 1-line block ×5, first 2 shown]
	v_mov_b32_dpp v29, v29 quad_perm:[2,3,0,1] row_mask:0xf bank_mask:0xf
	v_mov_b32_dpp v28, v28 quad_perm:[2,3,0,1] row_mask:0xf bank_mask:0xf
	buffer_store_dword v29, off, s[0:3], 0 offset:412
	buffer_store_dword v28, off, s[0:3], 0 offset:408
	v_mov_b32_dpp v28, v30 quad_perm:[2,3,0,1] row_mask:0xf bank_mask:0xf
	v_mov_b32_dpp v29, v31 quad_perm:[2,3,0,1] row_mask:0xf bank_mask:0xf
	;; [unrolled: 1-line block ×4, first 2 shown]
	buffer_load_dword v35, off, s[0:3], 0 offset:408
	buffer_load_dword v36, off, s[0:3], 0 offset:412
	s_nop 0
	buffer_store_dword v31, off, s[0:3], 0 offset:428
	buffer_store_dword v30, off, s[0:3], 0 offset:424
	;; [unrolled: 1-line block ×4, first 2 shown]
	buffer_load_dword v28, off, s[0:3], 0 offset:416
	s_nop 0
	buffer_load_dword v29, off, s[0:3], 0 offset:420
	buffer_load_dword v30, off, s[0:3], 0 offset:424
	;; [unrolled: 1-line block ×3, first 2 shown]
	s_nop 0
	buffer_store_dword v23, off, s[0:3], 0 offset:260
	buffer_store_dword v32, off, s[0:3], 0 offset:256
	s_waitcnt vmcnt(61)
	v_mov_b32_dpp v18, v18 quad_perm:[2,3,0,1] row_mask:0xf bank_mask:0xf
	s_waitcnt vmcnt(60)
	v_mov_b32_dpp v19, v19 quad_perm:[2,3,0,1] row_mask:0xf bank_mask:0xf
	;; [unrolled: 2-line block ×3, first 2 shown]
	buffer_store_dword v23, off, s[0:3], 0 offset:436
	buffer_store_dword v19, off, s[0:3], 0 offset:432
	buffer_load_dword v19, off, s[0:3], 0 offset:432
	s_nop 0
	buffer_load_dword v23, off, s[0:3], 0 offset:436
	s_waitcnt vmcnt(58)
	v_mov_b32_dpp v0, v0 quad_perm:[2,3,0,1] row_mask:0xf bank_mask:0xf
	buffer_store_dword v0, off, s[0:3], 0 offset:396
	buffer_store_dword v22, off, s[0:3], 0 offset:392
	;; [unrolled: 1-line block ×3, first 2 shown]
	s_waitcnt vmcnt(57)
	ds_bpermute_b32 v0, v71, v46
	ds_bpermute_b32 v15, v71, v15
	;; [unrolled: 1-line block ×3, first 2 shown]
	buffer_store_dword v21, off, s[0:3], 0 offset:384
	ds_bpermute_b32 v9, v71, v9
	s_waitcnt lgkmcnt(3)
	buffer_store_dword v0, off, s[0:3], 0 offset:284
	s_waitcnt lgkmcnt(2)
	buffer_store_dword v15, off, s[0:3], 0 offset:280
	s_waitcnt lgkmcnt(1)
	buffer_store_dword v14, off, s[0:3], 0 offset:276
	s_waitcnt vmcnt(57)
	ds_bpermute_b32 v0, v72, v50
	ds_bpermute_b32 v14, v72, v49
	ds_bpermute_b32 v15, v72, v48
	s_waitcnt lgkmcnt(3)
	buffer_store_dword v9, off, s[0:3], 0 offset:272
	ds_bpermute_b32 v9, v72, v47
	s_waitcnt lgkmcnt(3)
	buffer_store_dword v0, off, s[0:3], 0 offset:300
	s_waitcnt lgkmcnt(2)
	buffer_store_dword v14, off, s[0:3], 0 offset:296
	s_waitcnt lgkmcnt(1)
	buffer_store_dword v15, off, s[0:3], 0 offset:292
	s_waitcnt vmcnt(53)
	ds_bpermute_b32 v0, v73, v13
	ds_bpermute_b32 v12, v73, v12
	ds_bpermute_b32 v11, v73, v11
	s_waitcnt lgkmcnt(3)
	;; [unrolled: 13-line block ×3, first 2 shown]
	buffer_store_dword v9, off, s[0:3], 0 offset:304
	ds_bpermute_b32 v9, v74, v51
	s_waitcnt lgkmcnt(3)
	buffer_store_dword v0, off, s[0:3], 0 offset:332
	s_waitcnt lgkmcnt(2)
	buffer_store_dword v10, off, s[0:3], 0 offset:328
	;; [unrolled: 2-line block ×3, first 2 shown]
	s_waitcnt vmcnt(49)
	ds_bpermute_b32 v0, v75, v8
	ds_bpermute_b32 v7, v75, v7
	;; [unrolled: 1-line block ×4, first 2 shown]
	s_waitcnt lgkmcnt(4)
	buffer_store_dword v9, off, s[0:3], 0 offset:320
	s_waitcnt lgkmcnt(3)
	buffer_store_dword v0, off, s[0:3], 0 offset:348
	;; [unrolled: 2-line block ×4, first 2 shown]
	s_waitcnt vmcnt(49)
	ds_bpermute_b32 v0, v76, v58
	ds_bpermute_b32 v6, v76, v57
	ds_bpermute_b32 v7, v76, v56
	s_waitcnt lgkmcnt(3)
	buffer_store_dword v2, off, s[0:3], 0 offset:336
	ds_bpermute_b32 v2, v76, v55
	s_waitcnt lgkmcnt(3)
	buffer_store_dword v0, off, s[0:3], 0 offset:364
	s_waitcnt lgkmcnt(2)
	buffer_store_dword v6, off, s[0:3], 0 offset:360
	s_waitcnt lgkmcnt(1)
	buffer_store_dword v7, off, s[0:3], 0 offset:356
	s_waitcnt vmcnt(45)
	ds_bpermute_b32 v0, v77, v62
	ds_bpermute_b32 v6, v77, v59
	ds_bpermute_b32 v7, v77, v27
	s_waitcnt lgkmcnt(3)
	buffer_store_dword v2, off, s[0:3], 0 offset:352
	ds_bpermute_b32 v2, v77, v24
	s_waitcnt lgkmcnt(3)
	buffer_store_dword v0, off, s[0:3], 0 offset:380
	s_waitcnt lgkmcnt(2)
	buffer_store_dword v6, off, s[0:3], 0 offset:376
	s_waitcnt lgkmcnt(1)
	buffer_store_dword v7, off, s[0:3], 0 offset:372
	;; [unrolled: 13-line block ×4, first 2 shown]
	ds_bpermute_b32 v0, v73, v4
	ds_bpermute_b32 v4, v73, v41
	s_waitcnt lgkmcnt(2)
	buffer_store_dword v2, off, s[0:3], 0 offset:416
	s_waitcnt vmcnt(41)
	ds_bpermute_b32 v2, v73, v19
	s_waitcnt vmcnt(40)
	ds_bpermute_b32 v6, v73, v23
	s_waitcnt lgkmcnt(3)
	buffer_store_dword v0, off, s[0:3], 0 offset:444
	s_waitcnt lgkmcnt(2)
	buffer_store_dword v4, off, s[0:3], 0 offset:440
	;; [unrolled: 2-line block ×3, first 2 shown]
	ds_bpermute_b32 v0, v74, v3
	ds_bpermute_b32 v3, v74, v5
	;; [unrolled: 1-line block ×3, first 2 shown]
	buffer_store_dword v2, off, s[0:3], 0 offset:432
	ds_bpermute_b32 v2, v74, v26
	s_waitcnt lgkmcnt(3)
	buffer_store_dword v0, off, s[0:3], 0 offset:460
	s_waitcnt lgkmcnt(2)
	buffer_store_dword v3, off, s[0:3], 0 offset:456
	;; [unrolled: 2-line block ×3, first 2 shown]
	ds_bpermute_b32 v0, v75, v25
	ds_bpermute_b32 v3, v75, v37
	ds_bpermute_b32 v4, v75, v42
	s_waitcnt lgkmcnt(3)
	buffer_store_dword v2, off, s[0:3], 0 offset:448
	ds_bpermute_b32 v2, v75, v20
	s_waitcnt lgkmcnt(3)
	buffer_store_dword v0, off, s[0:3], 0 offset:476
	s_waitcnt lgkmcnt(2)
	buffer_store_dword v3, off, s[0:3], 0 offset:472
	;; [unrolled: 2-line block ×3, first 2 shown]
	ds_bpermute_b32 v0, v76, v1
	ds_bpermute_b32 v1, v76, v39
	;; [unrolled: 1-line block ×3, first 2 shown]
	s_waitcnt lgkmcnt(3)
	buffer_store_dword v2, off, s[0:3], 0 offset:464
	ds_bpermute_b32 v2, v76, v38
	s_waitcnt lgkmcnt(3)
	buffer_store_dword v0, off, s[0:3], 0 offset:492
	s_waitcnt lgkmcnt(2)
	buffer_store_dword v1, off, s[0:3], 0 offset:488
	s_waitcnt lgkmcnt(1)
	buffer_store_dword v3, off, s[0:3], 0 offset:484
	ds_bpermute_b32 v0, v77, v45
	ds_bpermute_b32 v1, v77, v44
	;; [unrolled: 1-line block ×4, first 2 shown]
	s_waitcnt lgkmcnt(4)
	buffer_store_dword v2, off, s[0:3], 0 offset:480
	s_waitcnt lgkmcnt(3)
	buffer_store_dword v0, off, s[0:3], 0 offset:508
	;; [unrolled: 2-line block ×5, first 2 shown]
	buffer_load_dword v0, v79, s[0:3], 0 offen
	buffer_load_dword v1, v79, s[0:3], 0 offen offset:4
	buffer_load_dword v2, v79, s[0:3], 0 offen offset:8
	;; [unrolled: 1-line block ×3, first 2 shown]
	s_nop 0
	buffer_load_dword v4, v79, s[0:3], 0 offen offset:128
	buffer_load_dword v5, v79, s[0:3], 0 offen offset:132
	buffer_load_dword v6, v79, s[0:3], 0 offen offset:136
	buffer_load_dword v7, v79, s[0:3], 0 offen offset:140
	buffer_load_dword v8, v80, s[0:3], 0 offen
	buffer_load_dword v9, v80, s[0:3], 0 offen offset:4
	buffer_load_dword v10, v80, s[0:3], 0 offen offset:8
	buffer_load_dword v11, v80, s[0:3], 0 offen offset:12
	buffer_load_dword v12, v80, s[0:3], 0 offen offset:128
	buffer_load_dword v13, v80, s[0:3], 0 offen offset:132
	buffer_load_dword v14, v80, s[0:3], 0 offen offset:136
	buffer_load_dword v15, v80, s[0:3], 0 offen offset:140
	buffer_load_dword v16, v81, s[0:3], 0 offen
	buffer_load_dword v17, v81, s[0:3], 0 offen offset:4
	buffer_load_dword v18, v81, s[0:3], 0 offen offset:8
	buffer_load_dword v19, v81, s[0:3], 0 offen offset:12
	buffer_load_dword v20, v81, s[0:3], 0 offen offset:128
	buffer_load_dword v21, v81, s[0:3], 0 offen offset:132
	buffer_load_dword v22, v81, s[0:3], 0 offen offset:136
	buffer_load_dword v23, v81, s[0:3], 0 offen offset:140
	buffer_load_dword v28, v82, s[0:3], 0 offen
	buffer_load_dword v29, v82, s[0:3], 0 offen offset:4
	buffer_load_dword v30, v82, s[0:3], 0 offen offset:8
	buffer_load_dword v31, v82, s[0:3], 0 offen offset:12
	buffer_load_dword v48, v82, s[0:3], 0 offen offset:128
	buffer_load_dword v49, v82, s[0:3], 0 offen offset:132
	buffer_load_dword v50, v82, s[0:3], 0 offen offset:136
	buffer_load_dword v51, v82, s[0:3], 0 offen offset:140
	buffer_load_dword v56, v83, s[0:3], 0 offen
	buffer_load_dword v57, v83, s[0:3], 0 offen offset:4
	buffer_load_dword v58, v83, s[0:3], 0 offen offset:8
	buffer_load_dword v59, v83, s[0:3], 0 offen offset:12
	buffer_load_dword v89, v84, s[0:3], 0 offen
	buffer_load_dword v90, v84, s[0:3], 0 offen offset:4
	buffer_load_dword v91, v84, s[0:3], 0 offen offset:8
	buffer_load_dword v92, v84, s[0:3], 0 offen offset:12
	buffer_load_dword v93, v85, s[0:3], 0 offen
	buffer_load_dword v94, v85, s[0:3], 0 offen offset:4
	buffer_load_dword v95, v85, s[0:3], 0 offen offset:8
	buffer_load_dword v96, v85, s[0:3], 0 offen offset:12
	;; [unrolled: 4-line block ×4, first 2 shown]
	buffer_load_dword v105, v88, s[0:3], 0 offen
	buffer_load_dword v106, v88, s[0:3], 0 offen offset:4
	buffer_load_dword v60, v78, s[0:3], 0 offen
	buffer_load_dword v61, v78, s[0:3], 0 offen offset:4
	buffer_load_dword v62, v78, s[0:3], 0 offen offset:8
	;; [unrolled: 1-line block ×5, first 2 shown]
	s_waitcnt vmcnt(59)
	ds_bpermute_b32 v44, v77, v0
	s_waitcnt vmcnt(58)
	ds_bpermute_b32 v45, v77, v1
	;; [unrolled: 2-line block ×36, first 2 shown]
	buffer_load_dword v59, v78, s[0:3], 0 offen offset:140
	buffer_load_dword v58, v78, s[0:3], 0 offen offset:136
	;; [unrolled: 1-line block ×4, first 2 shown]
	s_waitcnt vmcnt(27)
	ds_bpermute_b32 v0, v73, v89
	s_waitcnt vmcnt(26)
	ds_bpermute_b32 v1, v73, v90
	;; [unrolled: 2-line block ×18, first 2 shown]
	; wave barrier
	s_waitcnt vmcnt(5)
	ds_bpermute_b32 v18, v71, v107
	s_waitcnt vmcnt(4)
	ds_bpermute_b32 v19, v71, v108
	s_cbranch_scc0 .LBB51_2
; %bb.3:
	s_waitcnt lgkmcnt(14)
	v_mov_b32_e32 v33, v65
	s_branch .LBB51_5
.LBB51_4:
	v_pk_mov_b32 v[18:19], 0, 0
	v_pk_mov_b32 v[62:63], 0, 0
	v_mov_b32_e32 v57, v65
	v_mov_b32_e32 v45, v65
	;; [unrolled: 1-line block ×13, first 2 shown]
	v_pk_mov_b32 v[60:61], v[64:65], v[64:65] op_sel:[0,1]
	v_pk_mov_b32 v[58:59], 0, 0
	v_pk_mov_b32 v[46:47], 0, 0
	;; [unrolled: 1-line block ×12, first 2 shown]
	v_mov_b32_e32 v49, v65
	v_pk_mov_b32 v[50:51], 0, 0
	v_mov_b32_e32 v29, v65
	v_pk_mov_b32 v[30:31], 0, 0
.LBB51_5:
	s_load_dwordx2 s[4:5], s[4:5], 0x0
	v_lshl_or_b32 v64, s8, 12, v64
	v_mov_b32_e32 v65, 0
	v_lshlrev_b64 v[64:65], 4, v[64:65]
	s_waitcnt lgkmcnt(0)
	v_mov_b32_e32 v66, s5
	v_add_co_u32_e32 v64, vcc, s4, v64
	v_addc_co_u32_e32 v65, vcc, v66, v65, vcc
	global_store_dwordx4 v[64:65], v[60:63], off
	s_waitcnt vmcnt(1)
	global_store_dwordx4 v[64:65], v[56:59], off offset:16
	global_store_dwordx4 v[64:65], v[44:47], off offset:32
	;; [unrolled: 1-line block ×15, first 2 shown]
	s_endpgm
	.section	.rodata,"a",@progbits
	.p2align	6, 0x0
	.amdhsa_kernel _Z20warp_exchange_kernelILj256ELj16ELj32EN6common25BlockedToStripedShuffleOpEnEvPT3_j
		.amdhsa_group_segment_fixed_size 0
		.amdhsa_private_segment_fixed_size 528
		.amdhsa_kernarg_size 12
		.amdhsa_user_sgpr_count 8
		.amdhsa_user_sgpr_private_segment_buffer 1
		.amdhsa_user_sgpr_dispatch_ptr 0
		.amdhsa_user_sgpr_queue_ptr 0
		.amdhsa_user_sgpr_kernarg_segment_ptr 1
		.amdhsa_user_sgpr_dispatch_id 0
		.amdhsa_user_sgpr_flat_scratch_init 1
		.amdhsa_user_sgpr_kernarg_preload_length 0
		.amdhsa_user_sgpr_kernarg_preload_offset 0
		.amdhsa_user_sgpr_private_segment_size 0
		.amdhsa_uses_dynamic_stack 0
		.amdhsa_system_sgpr_private_segment_wavefront_offset 1
		.amdhsa_system_sgpr_workgroup_id_x 1
		.amdhsa_system_sgpr_workgroup_id_y 0
		.amdhsa_system_sgpr_workgroup_id_z 0
		.amdhsa_system_sgpr_workgroup_info 0
		.amdhsa_system_vgpr_workitem_id 0
		.amdhsa_next_free_vgpr 109
		.amdhsa_next_free_sgpr 10
		.amdhsa_accum_offset 112
		.amdhsa_reserve_vcc 1
		.amdhsa_reserve_flat_scratch 0
		.amdhsa_float_round_mode_32 0
		.amdhsa_float_round_mode_16_64 0
		.amdhsa_float_denorm_mode_32 3
		.amdhsa_float_denorm_mode_16_64 3
		.amdhsa_dx10_clamp 1
		.amdhsa_ieee_mode 1
		.amdhsa_fp16_overflow 0
		.amdhsa_tg_split 0
		.amdhsa_exception_fp_ieee_invalid_op 0
		.amdhsa_exception_fp_denorm_src 0
		.amdhsa_exception_fp_ieee_div_zero 0
		.amdhsa_exception_fp_ieee_overflow 0
		.amdhsa_exception_fp_ieee_underflow 0
		.amdhsa_exception_fp_ieee_inexact 0
		.amdhsa_exception_int_div_zero 0
	.end_amdhsa_kernel
	.section	.text._Z20warp_exchange_kernelILj256ELj16ELj32EN6common25BlockedToStripedShuffleOpEnEvPT3_j,"axG",@progbits,_Z20warp_exchange_kernelILj256ELj16ELj32EN6common25BlockedToStripedShuffleOpEnEvPT3_j,comdat
.Lfunc_end51:
	.size	_Z20warp_exchange_kernelILj256ELj16ELj32EN6common25BlockedToStripedShuffleOpEnEvPT3_j, .Lfunc_end51-_Z20warp_exchange_kernelILj256ELj16ELj32EN6common25BlockedToStripedShuffleOpEnEvPT3_j
                                        ; -- End function
	.section	.AMDGPU.csdata,"",@progbits
; Kernel info:
; codeLenInByte = 7188
; NumSgprs: 14
; NumVgprs: 109
; NumAgprs: 0
; TotalNumVgprs: 109
; ScratchSize: 528
; MemoryBound: 0
; FloatMode: 240
; IeeeMode: 1
; LDSByteSize: 0 bytes/workgroup (compile time only)
; SGPRBlocks: 1
; VGPRBlocks: 13
; NumSGPRsForWavesPerEU: 14
; NumVGPRsForWavesPerEU: 109
; AccumOffset: 112
; Occupancy: 4
; WaveLimiterHint : 1
; COMPUTE_PGM_RSRC2:SCRATCH_EN: 1
; COMPUTE_PGM_RSRC2:USER_SGPR: 8
; COMPUTE_PGM_RSRC2:TRAP_HANDLER: 0
; COMPUTE_PGM_RSRC2:TGID_X_EN: 1
; COMPUTE_PGM_RSRC2:TGID_Y_EN: 0
; COMPUTE_PGM_RSRC2:TGID_Z_EN: 0
; COMPUTE_PGM_RSRC2:TIDIG_COMP_CNT: 0
; COMPUTE_PGM_RSRC3_GFX90A:ACCUM_OFFSET: 27
; COMPUTE_PGM_RSRC3_GFX90A:TG_SPLIT: 0
	.section	.text._Z20warp_exchange_kernelILj256ELj1ELj16EN6common25StripedToBlockedShuffleOpEnEvPT3_j,"axG",@progbits,_Z20warp_exchange_kernelILj256ELj1ELj16EN6common25StripedToBlockedShuffleOpEnEvPT3_j,comdat
	.protected	_Z20warp_exchange_kernelILj256ELj1ELj16EN6common25StripedToBlockedShuffleOpEnEvPT3_j ; -- Begin function _Z20warp_exchange_kernelILj256ELj1ELj16EN6common25StripedToBlockedShuffleOpEnEvPT3_j
	.globl	_Z20warp_exchange_kernelILj256ELj1ELj16EN6common25StripedToBlockedShuffleOpEnEvPT3_j
	.p2align	8
	.type	_Z20warp_exchange_kernelILj256ELj1ELj16EN6common25StripedToBlockedShuffleOpEnEvPT3_j,@function
_Z20warp_exchange_kernelILj256ELj1ELj16EN6common25StripedToBlockedShuffleOpEnEvPT3_j: ; @_Z20warp_exchange_kernelILj256ELj1ELj16EN6common25StripedToBlockedShuffleOpEnEvPT3_j
; %bb.0:
	s_load_dword s0, s[4:5], 0x8
	v_mov_b32_e32 v5, 0
	s_waitcnt lgkmcnt(0)
	s_cmp_eq_u32 s0, 0
	s_cbranch_scc1 .LBB52_3
; %bb.1:
	v_mbcnt_lo_u32_b32 v1, -1, 0
	v_mbcnt_hi_u32_b32 v1, -1, v1
	v_lshlrev_b32_e32 v1, 2, v1
	v_mov_b32_e32 v2, v0
	v_mov_b32_e32 v3, 0
	;; [unrolled: 1-line block ×3, first 2 shown]
.LBB52_2:                               ; =>This Inner Loop Header: Depth=1
	s_waitcnt lgkmcnt(3)
	ds_bpermute_b32 v2, v1, v2
	s_waitcnt lgkmcnt(3)
	ds_bpermute_b32 v3, v1, v3
	;; [unrolled: 2-line block ×4, first 2 shown]
	s_add_i32 s0, s0, -1
	s_cmp_lg_u32 s0, 0
	; wave barrier
	s_cbranch_scc1 .LBB52_2
	s_branch .LBB52_4
.LBB52_3:
	v_mov_b32_e32 v2, v0
	v_mov_b32_e32 v3, 0
	;; [unrolled: 1-line block ×3, first 2 shown]
.LBB52_4:
	s_load_dwordx2 s[0:1], s[4:5], 0x0
	v_lshl_or_b32 v0, s6, 8, v0
	v_mov_b32_e32 v1, 0
	v_lshlrev_b64 v[0:1], 4, v[0:1]
	s_waitcnt lgkmcnt(0)
	v_mov_b32_e32 v6, s1
	v_add_co_u32_e32 v0, vcc, s0, v0
	v_addc_co_u32_e32 v1, vcc, v6, v1, vcc
	global_store_dwordx4 v[0:1], v[2:5], off
	s_endpgm
	.section	.rodata,"a",@progbits
	.p2align	6, 0x0
	.amdhsa_kernel _Z20warp_exchange_kernelILj256ELj1ELj16EN6common25StripedToBlockedShuffleOpEnEvPT3_j
		.amdhsa_group_segment_fixed_size 0
		.amdhsa_private_segment_fixed_size 0
		.amdhsa_kernarg_size 12
		.amdhsa_user_sgpr_count 6
		.amdhsa_user_sgpr_private_segment_buffer 1
		.amdhsa_user_sgpr_dispatch_ptr 0
		.amdhsa_user_sgpr_queue_ptr 0
		.amdhsa_user_sgpr_kernarg_segment_ptr 1
		.amdhsa_user_sgpr_dispatch_id 0
		.amdhsa_user_sgpr_flat_scratch_init 0
		.amdhsa_user_sgpr_kernarg_preload_length 0
		.amdhsa_user_sgpr_kernarg_preload_offset 0
		.amdhsa_user_sgpr_private_segment_size 0
		.amdhsa_uses_dynamic_stack 0
		.amdhsa_system_sgpr_private_segment_wavefront_offset 0
		.amdhsa_system_sgpr_workgroup_id_x 1
		.amdhsa_system_sgpr_workgroup_id_y 0
		.amdhsa_system_sgpr_workgroup_id_z 0
		.amdhsa_system_sgpr_workgroup_info 0
		.amdhsa_system_vgpr_workitem_id 0
		.amdhsa_next_free_vgpr 7
		.amdhsa_next_free_sgpr 7
		.amdhsa_accum_offset 8
		.amdhsa_reserve_vcc 1
		.amdhsa_reserve_flat_scratch 0
		.amdhsa_float_round_mode_32 0
		.amdhsa_float_round_mode_16_64 0
		.amdhsa_float_denorm_mode_32 3
		.amdhsa_float_denorm_mode_16_64 3
		.amdhsa_dx10_clamp 1
		.amdhsa_ieee_mode 1
		.amdhsa_fp16_overflow 0
		.amdhsa_tg_split 0
		.amdhsa_exception_fp_ieee_invalid_op 0
		.amdhsa_exception_fp_denorm_src 0
		.amdhsa_exception_fp_ieee_div_zero 0
		.amdhsa_exception_fp_ieee_overflow 0
		.amdhsa_exception_fp_ieee_underflow 0
		.amdhsa_exception_fp_ieee_inexact 0
		.amdhsa_exception_int_div_zero 0
	.end_amdhsa_kernel
	.section	.text._Z20warp_exchange_kernelILj256ELj1ELj16EN6common25StripedToBlockedShuffleOpEnEvPT3_j,"axG",@progbits,_Z20warp_exchange_kernelILj256ELj1ELj16EN6common25StripedToBlockedShuffleOpEnEvPT3_j,comdat
.Lfunc_end52:
	.size	_Z20warp_exchange_kernelILj256ELj1ELj16EN6common25StripedToBlockedShuffleOpEnEvPT3_j, .Lfunc_end52-_Z20warp_exchange_kernelILj256ELj1ELj16EN6common25StripedToBlockedShuffleOpEnEvPT3_j
                                        ; -- End function
	.section	.AMDGPU.csdata,"",@progbits
; Kernel info:
; codeLenInByte = 188
; NumSgprs: 11
; NumVgprs: 7
; NumAgprs: 0
; TotalNumVgprs: 7
; ScratchSize: 0
; MemoryBound: 0
; FloatMode: 240
; IeeeMode: 1
; LDSByteSize: 0 bytes/workgroup (compile time only)
; SGPRBlocks: 1
; VGPRBlocks: 0
; NumSGPRsForWavesPerEU: 11
; NumVGPRsForWavesPerEU: 7
; AccumOffset: 8
; Occupancy: 8
; WaveLimiterHint : 0
; COMPUTE_PGM_RSRC2:SCRATCH_EN: 0
; COMPUTE_PGM_RSRC2:USER_SGPR: 6
; COMPUTE_PGM_RSRC2:TRAP_HANDLER: 0
; COMPUTE_PGM_RSRC2:TGID_X_EN: 1
; COMPUTE_PGM_RSRC2:TGID_Y_EN: 0
; COMPUTE_PGM_RSRC2:TGID_Z_EN: 0
; COMPUTE_PGM_RSRC2:TIDIG_COMP_CNT: 0
; COMPUTE_PGM_RSRC3_GFX90A:ACCUM_OFFSET: 1
; COMPUTE_PGM_RSRC3_GFX90A:TG_SPLIT: 0
	.section	.text._Z20warp_exchange_kernelILj256ELj1ELj32EN6common25StripedToBlockedShuffleOpEnEvPT3_j,"axG",@progbits,_Z20warp_exchange_kernelILj256ELj1ELj32EN6common25StripedToBlockedShuffleOpEnEvPT3_j,comdat
	.protected	_Z20warp_exchange_kernelILj256ELj1ELj32EN6common25StripedToBlockedShuffleOpEnEvPT3_j ; -- Begin function _Z20warp_exchange_kernelILj256ELj1ELj32EN6common25StripedToBlockedShuffleOpEnEvPT3_j
	.globl	_Z20warp_exchange_kernelILj256ELj1ELj32EN6common25StripedToBlockedShuffleOpEnEvPT3_j
	.p2align	8
	.type	_Z20warp_exchange_kernelILj256ELj1ELj32EN6common25StripedToBlockedShuffleOpEnEvPT3_j,@function
_Z20warp_exchange_kernelILj256ELj1ELj32EN6common25StripedToBlockedShuffleOpEnEvPT3_j: ; @_Z20warp_exchange_kernelILj256ELj1ELj32EN6common25StripedToBlockedShuffleOpEnEvPT3_j
; %bb.0:
	s_load_dword s0, s[4:5], 0x8
	v_mov_b32_e32 v5, 0
	s_waitcnt lgkmcnt(0)
	s_cmp_eq_u32 s0, 0
	s_cbranch_scc1 .LBB53_3
; %bb.1:
	v_mbcnt_lo_u32_b32 v1, -1, 0
	v_mbcnt_hi_u32_b32 v1, -1, v1
	v_lshlrev_b32_e32 v1, 2, v1
	v_mov_b32_e32 v2, v0
	v_mov_b32_e32 v3, 0
	;; [unrolled: 1-line block ×3, first 2 shown]
.LBB53_2:                               ; =>This Inner Loop Header: Depth=1
	s_waitcnt lgkmcnt(3)
	ds_bpermute_b32 v2, v1, v2
	s_waitcnt lgkmcnt(3)
	ds_bpermute_b32 v3, v1, v3
	s_waitcnt lgkmcnt(3)
	ds_bpermute_b32 v4, v1, v4
	s_waitcnt lgkmcnt(3)
	ds_bpermute_b32 v5, v1, v5
	s_add_i32 s0, s0, -1
	s_cmp_lg_u32 s0, 0
	; wave barrier
	s_cbranch_scc1 .LBB53_2
	s_branch .LBB53_4
.LBB53_3:
	v_mov_b32_e32 v2, v0
	v_mov_b32_e32 v3, 0
	;; [unrolled: 1-line block ×3, first 2 shown]
.LBB53_4:
	s_load_dwordx2 s[0:1], s[4:5], 0x0
	v_lshl_or_b32 v0, s6, 8, v0
	v_mov_b32_e32 v1, 0
	v_lshlrev_b64 v[0:1], 4, v[0:1]
	s_waitcnt lgkmcnt(0)
	v_mov_b32_e32 v6, s1
	v_add_co_u32_e32 v0, vcc, s0, v0
	v_addc_co_u32_e32 v1, vcc, v6, v1, vcc
	global_store_dwordx4 v[0:1], v[2:5], off
	s_endpgm
	.section	.rodata,"a",@progbits
	.p2align	6, 0x0
	.amdhsa_kernel _Z20warp_exchange_kernelILj256ELj1ELj32EN6common25StripedToBlockedShuffleOpEnEvPT3_j
		.amdhsa_group_segment_fixed_size 0
		.amdhsa_private_segment_fixed_size 0
		.amdhsa_kernarg_size 12
		.amdhsa_user_sgpr_count 6
		.amdhsa_user_sgpr_private_segment_buffer 1
		.amdhsa_user_sgpr_dispatch_ptr 0
		.amdhsa_user_sgpr_queue_ptr 0
		.amdhsa_user_sgpr_kernarg_segment_ptr 1
		.amdhsa_user_sgpr_dispatch_id 0
		.amdhsa_user_sgpr_flat_scratch_init 0
		.amdhsa_user_sgpr_kernarg_preload_length 0
		.amdhsa_user_sgpr_kernarg_preload_offset 0
		.amdhsa_user_sgpr_private_segment_size 0
		.amdhsa_uses_dynamic_stack 0
		.amdhsa_system_sgpr_private_segment_wavefront_offset 0
		.amdhsa_system_sgpr_workgroup_id_x 1
		.amdhsa_system_sgpr_workgroup_id_y 0
		.amdhsa_system_sgpr_workgroup_id_z 0
		.amdhsa_system_sgpr_workgroup_info 0
		.amdhsa_system_vgpr_workitem_id 0
		.amdhsa_next_free_vgpr 7
		.amdhsa_next_free_sgpr 7
		.amdhsa_accum_offset 8
		.amdhsa_reserve_vcc 1
		.amdhsa_reserve_flat_scratch 0
		.amdhsa_float_round_mode_32 0
		.amdhsa_float_round_mode_16_64 0
		.amdhsa_float_denorm_mode_32 3
		.amdhsa_float_denorm_mode_16_64 3
		.amdhsa_dx10_clamp 1
		.amdhsa_ieee_mode 1
		.amdhsa_fp16_overflow 0
		.amdhsa_tg_split 0
		.amdhsa_exception_fp_ieee_invalid_op 0
		.amdhsa_exception_fp_denorm_src 0
		.amdhsa_exception_fp_ieee_div_zero 0
		.amdhsa_exception_fp_ieee_overflow 0
		.amdhsa_exception_fp_ieee_underflow 0
		.amdhsa_exception_fp_ieee_inexact 0
		.amdhsa_exception_int_div_zero 0
	.end_amdhsa_kernel
	.section	.text._Z20warp_exchange_kernelILj256ELj1ELj32EN6common25StripedToBlockedShuffleOpEnEvPT3_j,"axG",@progbits,_Z20warp_exchange_kernelILj256ELj1ELj32EN6common25StripedToBlockedShuffleOpEnEvPT3_j,comdat
.Lfunc_end53:
	.size	_Z20warp_exchange_kernelILj256ELj1ELj32EN6common25StripedToBlockedShuffleOpEnEvPT3_j, .Lfunc_end53-_Z20warp_exchange_kernelILj256ELj1ELj32EN6common25StripedToBlockedShuffleOpEnEvPT3_j
                                        ; -- End function
	.section	.AMDGPU.csdata,"",@progbits
; Kernel info:
; codeLenInByte = 188
; NumSgprs: 11
; NumVgprs: 7
; NumAgprs: 0
; TotalNumVgprs: 7
; ScratchSize: 0
; MemoryBound: 0
; FloatMode: 240
; IeeeMode: 1
; LDSByteSize: 0 bytes/workgroup (compile time only)
; SGPRBlocks: 1
; VGPRBlocks: 0
; NumSGPRsForWavesPerEU: 11
; NumVGPRsForWavesPerEU: 7
; AccumOffset: 8
; Occupancy: 8
; WaveLimiterHint : 0
; COMPUTE_PGM_RSRC2:SCRATCH_EN: 0
; COMPUTE_PGM_RSRC2:USER_SGPR: 6
; COMPUTE_PGM_RSRC2:TRAP_HANDLER: 0
; COMPUTE_PGM_RSRC2:TGID_X_EN: 1
; COMPUTE_PGM_RSRC2:TGID_Y_EN: 0
; COMPUTE_PGM_RSRC2:TGID_Z_EN: 0
; COMPUTE_PGM_RSRC2:TIDIG_COMP_CNT: 0
; COMPUTE_PGM_RSRC3_GFX90A:ACCUM_OFFSET: 1
; COMPUTE_PGM_RSRC3_GFX90A:TG_SPLIT: 0
	.section	.text._Z20warp_exchange_kernelILj256ELj4ELj16EN6common25StripedToBlockedShuffleOpEnEvPT3_j,"axG",@progbits,_Z20warp_exchange_kernelILj256ELj4ELj16EN6common25StripedToBlockedShuffleOpEnEvPT3_j,comdat
	.protected	_Z20warp_exchange_kernelILj256ELj4ELj16EN6common25StripedToBlockedShuffleOpEnEvPT3_j ; -- Begin function _Z20warp_exchange_kernelILj256ELj4ELj16EN6common25StripedToBlockedShuffleOpEnEvPT3_j
	.globl	_Z20warp_exchange_kernelILj256ELj4ELj16EN6common25StripedToBlockedShuffleOpEnEvPT3_j
	.p2align	8
	.type	_Z20warp_exchange_kernelILj256ELj4ELj16EN6common25StripedToBlockedShuffleOpEnEvPT3_j,@function
_Z20warp_exchange_kernelILj256ELj4ELj16EN6common25StripedToBlockedShuffleOpEnEvPT3_j: ; @_Z20warp_exchange_kernelILj256ELj4ELj16EN6common25StripedToBlockedShuffleOpEnEvPT3_j
; %bb.0:
	s_load_dword s6, s[4:5], 0x8
	s_add_u32 s0, s0, s9
	s_addc_u32 s1, s1, 0
	v_lshlrev_b32_e32 v16, 2, v0
	v_or_b32_e32 v12, 1, v16
	v_or_b32_e32 v8, 2, v16
	s_waitcnt lgkmcnt(0)
	s_cmp_eq_u32 s6, 0
	v_or_b32_e32 v4, 3, v16
	s_cbranch_scc1 .LBB54_3
; %bb.1:
	v_mbcnt_lo_u32_b32 v0, -1, 0
	v_mbcnt_hi_u32_b32 v0, -1, v0
	v_and_b32_e32 v1, 0x70, v0
	v_add_u32_e32 v10, 12, v0
	v_and_or_b32 v10, v10, 15, v1
	v_lshlrev_b32_e32 v18, 2, v10
	v_lshlrev_b32_e32 v10, 2, v0
	v_xor_b32_e32 v19, 32, v10
	v_add_u32_e32 v10, 4, v0
	v_and_or_b32 v1, v10, 15, v1
	v_lshlrev_b32_e32 v20, 2, v1
	v_lshrrev_b32_e32 v1, 2, v0
	v_add_u32_e32 v1, -1, v1
	v_bfe_u32 v10, v0, 2, 2
	v_mov_b32_e32 v11, 0
	v_and_b32_e32 v1, 3, v1
	v_lshl_add_u32 v22, v1, 4, v11
	v_xor_b32_e32 v1, 2, v10
	v_lshl_add_u32 v23, v1, 4, v11
	v_add_u32_e32 v1, -1, v1
	v_and_b32_e32 v1, 3, v1
	v_lshl_add_u32 v24, v1, 4, v11
	v_and_b32_e32 v1, 3, v0
	v_add_u32_e32 v0, -1, v0
	v_lshl_add_u32 v21, v10, 4, v11
	v_mov_b32_e32 v10, 64
	v_and_b32_e32 v0, 3, v0
	v_lshl_add_u32 v26, v0, 4, v10
	v_xor_b32_e32 v0, 2, v1
	v_mov_b32_e32 v5, 0
	v_lshl_add_u32 v27, v0, 4, v10
	v_add_u32_e32 v0, -1, v0
	v_mov_b32_e32 v17, v5
	v_and_b32_e32 v0, 3, v0
	v_pk_mov_b32 v[2:3], 0, 0
	v_pk_mov_b32 v[6:7], 0, 0
	v_mov_b32_e32 v9, v5
	v_mov_b32_e32 v13, v5
	v_lshl_add_u32 v25, v1, 4, v10
	v_lshl_add_u32 v28, v0, 4, v10
	v_pk_mov_b32 v[10:11], 0, 0
	v_pk_mov_b32 v[14:15], 0, 0
	v_pk_mov_b32 v[0:1], v[16:17], v[16:17] op_sel:[0,1]
.LBB54_2:                               ; =>This Inner Loop Header: Depth=1
	s_waitcnt vmcnt(3)
	buffer_store_dword v0, off, s[0:3], 0
	s_waitcnt vmcnt(3)
	buffer_store_dword v1, off, s[0:3], 0 offset:4
	s_waitcnt vmcnt(3)
	buffer_store_dword v2, off, s[0:3], 0 offset:8
	;; [unrolled: 2-line block ×3, first 2 shown]
	buffer_store_dword v12, off, s[0:3], 0 offset:16
	buffer_store_dword v13, off, s[0:3], 0 offset:20
	;; [unrolled: 1-line block ×12, first 2 shown]
	ds_bpermute_b32 v12, v18, v12
	ds_bpermute_b32 v13, v18, v13
	;; [unrolled: 1-line block ×12, first 2 shown]
	buffer_store_dword v0, v21, s[0:3], 0 offen
	buffer_store_dword v1, v21, s[0:3], 0 offen offset:4
	buffer_store_dword v2, v21, s[0:3], 0 offen offset:8
	;; [unrolled: 1-line block ×3, first 2 shown]
	s_waitcnt lgkmcnt(11)
	buffer_store_dword v12, v22, s[0:3], 0 offen
	s_waitcnt lgkmcnt(10)
	buffer_store_dword v13, v22, s[0:3], 0 offen offset:4
	s_waitcnt lgkmcnt(9)
	buffer_store_dword v14, v22, s[0:3], 0 offen offset:8
	;; [unrolled: 2-line block ×4, first 2 shown]
	buffer_store_dword v10, v23, s[0:3], 0 offen offset:8
	buffer_store_dword v9, v23, s[0:3], 0 offen offset:4
	buffer_store_dword v8, v23, s[0:3], 0 offen
	s_waitcnt lgkmcnt(0)
	buffer_store_dword v7, v24, s[0:3], 0 offen offset:12
	buffer_store_dword v6, v24, s[0:3], 0 offen offset:8
	;; [unrolled: 1-line block ×3, first 2 shown]
	buffer_store_dword v4, v24, s[0:3], 0 offen
	buffer_load_dword v0, off, s[0:3], 0 offset:16
	buffer_load_dword v1, off, s[0:3], 0 offset:28
	;; [unrolled: 1-line block ×4, first 2 shown]
	s_nop 0
	buffer_load_dword v4, off, s[0:3], 0 offset:20
	buffer_load_dword v5, off, s[0:3], 0 offset:44
	;; [unrolled: 1-line block ×11, first 2 shown]
	buffer_load_dword v15, off, s[0:3], 0
	s_add_i32 s6, s6, -1
	s_cmp_lg_u32 s6, 0
	s_waitcnt vmcnt(3)
	buffer_store_dword v12, v25, s[0:3], 0 offen offset:12
	s_waitcnt vmcnt(3)
	buffer_store_dword v13, v25, s[0:3], 0 offen offset:8
	;; [unrolled: 2-line block ×3, first 2 shown]
	s_waitcnt vmcnt(3)
	buffer_store_dword v15, v25, s[0:3], 0 offen
	ds_bpermute_b32 v1, v20, v1
	ds_bpermute_b32 v0, v20, v0
	;; [unrolled: 1-line block ×12, first 2 shown]
	s_waitcnt lgkmcnt(11)
	v_mov_b32_dpp v1, v1 quad_perm:[3,0,1,2] row_mask:0xf bank_mask:0xf
	s_waitcnt lgkmcnt(10)
	v_mov_b32_dpp v0, v0 quad_perm:[3,0,1,2] row_mask:0xf bank_mask:0xf
	;; [unrolled: 2-line block ×12, first 2 shown]
	buffer_store_dword v1, v26, s[0:3], 0 offen offset:12
	buffer_store_dword v3, v26, s[0:3], 0 offen offset:8
	buffer_store_dword v4, v26, s[0:3], 0 offen offset:4
	buffer_store_dword v0, v26, s[0:3], 0 offen
	buffer_store_dword v5, v27, s[0:3], 0 offen offset:12
	buffer_store_dword v10, v27, s[0:3], 0 offen offset:8
	buffer_store_dword v9, v27, s[0:3], 0 offen offset:4
	buffer_store_dword v2, v27, s[0:3], 0 offen
	;; [unrolled: 4-line block ×3, first 2 shown]
	buffer_load_dword v4, off, s[0:3], 0 offset:80
	buffer_load_dword v5, off, s[0:3], 0 offset:84
	s_nop 0
	buffer_load_dword v6, off, s[0:3], 0 offset:88
	buffer_load_dword v7, off, s[0:3], 0 offset:92
	;; [unrolled: 1-line block ×14, first 2 shown]
	; wave barrier
	s_waitcnt vmcnt(15)
	v_mov_b32_dpp v12, v4 quad_perm:[1,2,3,0] row_mask:0xf bank_mask:0xf
	s_waitcnt vmcnt(14)
	v_mov_b32_dpp v13, v5 quad_perm:[1,2,3,0] row_mask:0xf bank_mask:0xf
	;; [unrolled: 2-line block ×12, first 2 shown]
	s_cbranch_scc1 .LBB54_2
	s_branch .LBB54_4
.LBB54_3:
	v_mov_b32_e32 v17, 0
	v_pk_mov_b32 v[6:7], 0, 0
	v_pk_mov_b32 v[2:3], 0, 0
	v_mov_b32_e32 v13, v17
	v_mov_b32_e32 v9, v17
	;; [unrolled: 1-line block ×3, first 2 shown]
	v_pk_mov_b32 v[0:1], v[16:17], v[16:17] op_sel:[0,1]
	v_pk_mov_b32 v[14:15], 0, 0
	v_pk_mov_b32 v[10:11], 0, 0
.LBB54_4:
	s_load_dwordx2 s[4:5], s[4:5], 0x0
	v_lshl_or_b32 v16, s8, 10, v16
	v_mov_b32_e32 v17, 0
	v_lshlrev_b64 v[16:17], 4, v[16:17]
	s_waitcnt lgkmcnt(0)
	v_mov_b32_e32 v18, s5
	v_add_co_u32_e32 v16, vcc, s4, v16
	v_addc_co_u32_e32 v17, vcc, v18, v17, vcc
	s_waitcnt vmcnt(0)
	global_store_dwordx4 v[16:17], v[0:3], off
	global_store_dwordx4 v[16:17], v[12:15], off offset:16
	global_store_dwordx4 v[16:17], v[8:11], off offset:32
	;; [unrolled: 1-line block ×3, first 2 shown]
	s_endpgm
	.section	.rodata,"a",@progbits
	.p2align	6, 0x0
	.amdhsa_kernel _Z20warp_exchange_kernelILj256ELj4ELj16EN6common25StripedToBlockedShuffleOpEnEvPT3_j
		.amdhsa_group_segment_fixed_size 0
		.amdhsa_private_segment_fixed_size 144
		.amdhsa_kernarg_size 12
		.amdhsa_user_sgpr_count 8
		.amdhsa_user_sgpr_private_segment_buffer 1
		.amdhsa_user_sgpr_dispatch_ptr 0
		.amdhsa_user_sgpr_queue_ptr 0
		.amdhsa_user_sgpr_kernarg_segment_ptr 1
		.amdhsa_user_sgpr_dispatch_id 0
		.amdhsa_user_sgpr_flat_scratch_init 1
		.amdhsa_user_sgpr_kernarg_preload_length 0
		.amdhsa_user_sgpr_kernarg_preload_offset 0
		.amdhsa_user_sgpr_private_segment_size 0
		.amdhsa_uses_dynamic_stack 0
		.amdhsa_system_sgpr_private_segment_wavefront_offset 1
		.amdhsa_system_sgpr_workgroup_id_x 1
		.amdhsa_system_sgpr_workgroup_id_y 0
		.amdhsa_system_sgpr_workgroup_id_z 0
		.amdhsa_system_sgpr_workgroup_info 0
		.amdhsa_system_vgpr_workitem_id 0
		.amdhsa_next_free_vgpr 32
		.amdhsa_next_free_sgpr 10
		.amdhsa_accum_offset 32
		.amdhsa_reserve_vcc 1
		.amdhsa_reserve_flat_scratch 0
		.amdhsa_float_round_mode_32 0
		.amdhsa_float_round_mode_16_64 0
		.amdhsa_float_denorm_mode_32 3
		.amdhsa_float_denorm_mode_16_64 3
		.amdhsa_dx10_clamp 1
		.amdhsa_ieee_mode 1
		.amdhsa_fp16_overflow 0
		.amdhsa_tg_split 0
		.amdhsa_exception_fp_ieee_invalid_op 0
		.amdhsa_exception_fp_denorm_src 0
		.amdhsa_exception_fp_ieee_div_zero 0
		.amdhsa_exception_fp_ieee_overflow 0
		.amdhsa_exception_fp_ieee_underflow 0
		.amdhsa_exception_fp_ieee_inexact 0
		.amdhsa_exception_int_div_zero 0
	.end_amdhsa_kernel
	.section	.text._Z20warp_exchange_kernelILj256ELj4ELj16EN6common25StripedToBlockedShuffleOpEnEvPT3_j,"axG",@progbits,_Z20warp_exchange_kernelILj256ELj4ELj16EN6common25StripedToBlockedShuffleOpEnEvPT3_j,comdat
.Lfunc_end54:
	.size	_Z20warp_exchange_kernelILj256ELj4ELj16EN6common25StripedToBlockedShuffleOpEnEvPT3_j, .Lfunc_end54-_Z20warp_exchange_kernelILj256ELj4ELj16EN6common25StripedToBlockedShuffleOpEnEvPT3_j
                                        ; -- End function
	.section	.AMDGPU.csdata,"",@progbits
; Kernel info:
; codeLenInByte = 1632
; NumSgprs: 14
; NumVgprs: 32
; NumAgprs: 0
; TotalNumVgprs: 32
; ScratchSize: 144
; MemoryBound: 0
; FloatMode: 240
; IeeeMode: 1
; LDSByteSize: 0 bytes/workgroup (compile time only)
; SGPRBlocks: 1
; VGPRBlocks: 3
; NumSGPRsForWavesPerEU: 14
; NumVGPRsForWavesPerEU: 32
; AccumOffset: 32
; Occupancy: 8
; WaveLimiterHint : 0
; COMPUTE_PGM_RSRC2:SCRATCH_EN: 1
; COMPUTE_PGM_RSRC2:USER_SGPR: 8
; COMPUTE_PGM_RSRC2:TRAP_HANDLER: 0
; COMPUTE_PGM_RSRC2:TGID_X_EN: 1
; COMPUTE_PGM_RSRC2:TGID_Y_EN: 0
; COMPUTE_PGM_RSRC2:TGID_Z_EN: 0
; COMPUTE_PGM_RSRC2:TIDIG_COMP_CNT: 0
; COMPUTE_PGM_RSRC3_GFX90A:ACCUM_OFFSET: 7
; COMPUTE_PGM_RSRC3_GFX90A:TG_SPLIT: 0
	.section	.text._Z20warp_exchange_kernelILj256ELj4ELj32EN6common25StripedToBlockedShuffleOpEnEvPT3_j,"axG",@progbits,_Z20warp_exchange_kernelILj256ELj4ELj32EN6common25StripedToBlockedShuffleOpEnEvPT3_j,comdat
	.protected	_Z20warp_exchange_kernelILj256ELj4ELj32EN6common25StripedToBlockedShuffleOpEnEvPT3_j ; -- Begin function _Z20warp_exchange_kernelILj256ELj4ELj32EN6common25StripedToBlockedShuffleOpEnEvPT3_j
	.globl	_Z20warp_exchange_kernelILj256ELj4ELj32EN6common25StripedToBlockedShuffleOpEnEvPT3_j
	.p2align	8
	.type	_Z20warp_exchange_kernelILj256ELj4ELj32EN6common25StripedToBlockedShuffleOpEnEvPT3_j,@function
_Z20warp_exchange_kernelILj256ELj4ELj32EN6common25StripedToBlockedShuffleOpEnEvPT3_j: ; @_Z20warp_exchange_kernelILj256ELj4ELj32EN6common25StripedToBlockedShuffleOpEnEvPT3_j
; %bb.0:
	s_load_dword s7, s[4:5], 0x8
	v_lshlrev_b32_e32 v16, 2, v0
	v_mov_b32_e32 v17, 0
	v_or_b32_e32 v22, 1, v16
	v_or_b32_e32 v20, 2, v16
	s_waitcnt lgkmcnt(0)
	s_cmp_eq_u32 s7, 0
	v_or_b32_e32 v18, 3, v16
	s_cbranch_scc1 .LBB55_27
; %bb.1:
	v_mbcnt_lo_u32_b32 v0, -1, 0
	v_mbcnt_hi_u32_b32 v0, -1, v0
	v_lshlrev_b32_e32 v2, 2, v0
	v_and_b32_e32 v3, 0x60, v0
	v_and_or_b32 v2, v2, 28, v3
	v_and_b32_e32 v1, 31, v0
	v_bfe_u32 v0, v0, 3, 2
	v_lshlrev_b32_e32 v26, 2, v2
	v_cmp_gt_u32_e32 vcc, 8, v1
	v_cmp_eq_u32_e64 s[0:1], 1, v0
	v_cmp_eq_u32_e64 s[2:3], 2, v0
	;; [unrolled: 1-line block ×3, first 2 shown]
	v_or_b32_e32 v27, 4, v26
	v_or_b32_e32 v28, 8, v26
	;; [unrolled: 1-line block ×3, first 2 shown]
	v_mov_b32_e32 v30, 0
	v_mov_b32_e32 v31, 0
	;; [unrolled: 1-line block ×12, first 2 shown]
	s_branch .LBB55_3
.LBB55_2:                               ;   in Loop: Header=BB55_3 Depth=1
	s_or_b64 exec, exec, s[10:11]
	s_add_i32 s7, s7, -1
	s_cmp_lg_u32 s7, 0
	s_waitcnt lgkmcnt(3)
	v_mov_b32_e32 v18, v12
	v_mov_b32_e32 v17, v13
	;; [unrolled: 1-line block ×4, first 2 shown]
	s_waitcnt lgkmcnt(1)
	v_mov_b32_e32 v20, v8
	v_mov_b32_e32 v19, v9
	;; [unrolled: 1-line block ×5, first 2 shown]
	s_waitcnt lgkmcnt(0)
	v_mov_b32_e32 v21, v5
	v_mov_b32_e32 v24, v6
	;; [unrolled: 1-line block ×7, first 2 shown]
	; wave barrier
	s_cbranch_scc0 .LBB55_28
.LBB55_3:                               ; =>This Inner Loop Header: Depth=1
	ds_bpermute_b32 v0, v26, v23
	ds_bpermute_b32 v1, v26, v34
	;; [unrolled: 1-line block ×4, first 2 shown]
	s_and_saveexec_b64 s[10:11], vcc
	s_or_b64 exec, exec, s[10:11]
	ds_bpermute_b32 v4, v26, v22
	ds_bpermute_b32 v5, v26, v21
	;; [unrolled: 1-line block ×4, first 2 shown]
	s_and_saveexec_b64 s[10:11], s[0:1]
	s_cbranch_execz .LBB55_5
; %bb.4:                                ;   in Loop: Header=BB55_3 Depth=1
	s_waitcnt lgkmcnt(2)
	v_pk_mov_b32 v[0:1], v[4:5], v[4:5] op_sel:[0,1]
	s_waitcnt lgkmcnt(0)
	v_pk_mov_b32 v[2:3], v[6:7], v[6:7] op_sel:[0,1]
.LBB55_5:                               ;   in Loop: Header=BB55_3 Depth=1
	s_or_b64 exec, exec, s[10:11]
	s_waitcnt lgkmcnt(3)
	ds_bpermute_b32 v4, v26, v20
	s_waitcnt lgkmcnt(3)
	ds_bpermute_b32 v5, v26, v19
	s_waitcnt lgkmcnt(3)
	ds_bpermute_b32 v6, v26, v32
	s_waitcnt lgkmcnt(3)
	ds_bpermute_b32 v7, v26, v33
	s_and_saveexec_b64 s[10:11], s[2:3]
	s_cbranch_execz .LBB55_7
; %bb.6:                                ;   in Loop: Header=BB55_3 Depth=1
	s_waitcnt lgkmcnt(2)
	v_pk_mov_b32 v[0:1], v[4:5], v[4:5] op_sel:[0,1]
	s_waitcnt lgkmcnt(0)
	v_pk_mov_b32 v[2:3], v[6:7], v[6:7] op_sel:[0,1]
.LBB55_7:                               ;   in Loop: Header=BB55_3 Depth=1
	s_or_b64 exec, exec, s[10:11]
	s_waitcnt lgkmcnt(3)
	ds_bpermute_b32 v4, v26, v18
	s_waitcnt lgkmcnt(3)
	ds_bpermute_b32 v5, v26, v17
	s_waitcnt lgkmcnt(3)
	ds_bpermute_b32 v6, v26, v30
	s_waitcnt lgkmcnt(3)
	ds_bpermute_b32 v7, v26, v31
	;; [unrolled: 17-line block ×3, first 2 shown]
	s_and_saveexec_b64 s[10:11], vcc
	s_or_b64 exec, exec, s[10:11]
	ds_bpermute_b32 v8, v27, v22
	ds_bpermute_b32 v9, v27, v21
	;; [unrolled: 1-line block ×4, first 2 shown]
	s_and_saveexec_b64 s[10:11], s[0:1]
	s_cbranch_execz .LBB55_11
; %bb.10:                               ;   in Loop: Header=BB55_3 Depth=1
	s_waitcnt lgkmcnt(2)
	v_pk_mov_b32 v[4:5], v[8:9], v[8:9] op_sel:[0,1]
	s_waitcnt lgkmcnt(0)
	v_pk_mov_b32 v[6:7], v[10:11], v[10:11] op_sel:[0,1]
.LBB55_11:                              ;   in Loop: Header=BB55_3 Depth=1
	s_or_b64 exec, exec, s[10:11]
	s_waitcnt lgkmcnt(3)
	ds_bpermute_b32 v8, v27, v20
	s_waitcnt lgkmcnt(3)
	ds_bpermute_b32 v9, v27, v19
	s_waitcnt lgkmcnt(3)
	ds_bpermute_b32 v10, v27, v32
	s_waitcnt lgkmcnt(3)
	ds_bpermute_b32 v11, v27, v33
	s_and_saveexec_b64 s[10:11], s[2:3]
	s_cbranch_execz .LBB55_13
; %bb.12:                               ;   in Loop: Header=BB55_3 Depth=1
	s_waitcnt lgkmcnt(2)
	v_pk_mov_b32 v[4:5], v[8:9], v[8:9] op_sel:[0,1]
	s_waitcnt lgkmcnt(0)
	v_pk_mov_b32 v[6:7], v[10:11], v[10:11] op_sel:[0,1]
.LBB55_13:                              ;   in Loop: Header=BB55_3 Depth=1
	s_or_b64 exec, exec, s[10:11]
	s_waitcnt lgkmcnt(3)
	ds_bpermute_b32 v8, v27, v18
	s_waitcnt lgkmcnt(3)
	ds_bpermute_b32 v9, v27, v17
	s_waitcnt lgkmcnt(3)
	ds_bpermute_b32 v10, v27, v30
	s_waitcnt lgkmcnt(3)
	ds_bpermute_b32 v11, v27, v31
	;; [unrolled: 17-line block ×3, first 2 shown]
	s_and_saveexec_b64 s[10:11], vcc
	s_or_b64 exec, exec, s[10:11]
	ds_bpermute_b32 v12, v28, v22
	ds_bpermute_b32 v13, v28, v21
	;; [unrolled: 1-line block ×4, first 2 shown]
	s_and_saveexec_b64 s[10:11], s[0:1]
	s_cbranch_execz .LBB55_17
; %bb.16:                               ;   in Loop: Header=BB55_3 Depth=1
	s_waitcnt lgkmcnt(2)
	v_pk_mov_b32 v[8:9], v[12:13], v[12:13] op_sel:[0,1]
	s_waitcnt lgkmcnt(0)
	v_pk_mov_b32 v[10:11], v[14:15], v[14:15] op_sel:[0,1]
.LBB55_17:                              ;   in Loop: Header=BB55_3 Depth=1
	s_or_b64 exec, exec, s[10:11]
	s_waitcnt lgkmcnt(3)
	ds_bpermute_b32 v12, v28, v20
	s_waitcnt lgkmcnt(3)
	ds_bpermute_b32 v13, v28, v19
	s_waitcnt lgkmcnt(3)
	ds_bpermute_b32 v14, v28, v32
	s_waitcnt lgkmcnt(3)
	ds_bpermute_b32 v15, v28, v33
	s_and_saveexec_b64 s[10:11], s[2:3]
	s_cbranch_execz .LBB55_19
; %bb.18:                               ;   in Loop: Header=BB55_3 Depth=1
	s_waitcnt lgkmcnt(2)
	v_pk_mov_b32 v[8:9], v[12:13], v[12:13] op_sel:[0,1]
	s_waitcnt lgkmcnt(0)
	v_pk_mov_b32 v[10:11], v[14:15], v[14:15] op_sel:[0,1]
.LBB55_19:                              ;   in Loop: Header=BB55_3 Depth=1
	s_or_b64 exec, exec, s[10:11]
	s_waitcnt lgkmcnt(3)
	ds_bpermute_b32 v12, v28, v18
	s_waitcnt lgkmcnt(3)
	ds_bpermute_b32 v13, v28, v17
	s_waitcnt lgkmcnt(3)
	ds_bpermute_b32 v14, v28, v30
	s_waitcnt lgkmcnt(3)
	ds_bpermute_b32 v15, v28, v31
	;; [unrolled: 17-line block ×3, first 2 shown]
	s_and_saveexec_b64 s[10:11], vcc
	s_or_b64 exec, exec, s[10:11]
	ds_bpermute_b32 v22, v29, v22
	ds_bpermute_b32 v23, v29, v21
	;; [unrolled: 1-line block ×4, first 2 shown]
	s_and_saveexec_b64 s[10:11], s[0:1]
	s_cbranch_execz .LBB55_23
; %bb.22:                               ;   in Loop: Header=BB55_3 Depth=1
	s_waitcnt lgkmcnt(2)
	v_pk_mov_b32 v[12:13], v[22:23], v[22:23] op_sel:[0,1]
	s_waitcnt lgkmcnt(0)
	v_pk_mov_b32 v[14:15], v[24:25], v[24:25] op_sel:[0,1]
.LBB55_23:                              ;   in Loop: Header=BB55_3 Depth=1
	s_or_b64 exec, exec, s[10:11]
	ds_bpermute_b32 v20, v29, v20
	ds_bpermute_b32 v21, v29, v19
	s_waitcnt lgkmcnt(5)
	ds_bpermute_b32 v22, v29, v32
	s_waitcnt lgkmcnt(5)
	ds_bpermute_b32 v23, v29, v33
	s_and_saveexec_b64 s[10:11], s[2:3]
	s_cbranch_execz .LBB55_25
; %bb.24:                               ;   in Loop: Header=BB55_3 Depth=1
	s_waitcnt lgkmcnt(2)
	v_pk_mov_b32 v[12:13], v[20:21], v[20:21] op_sel:[0,1]
	s_waitcnt lgkmcnt(0)
	v_pk_mov_b32 v[14:15], v[22:23], v[22:23] op_sel:[0,1]
.LBB55_25:                              ;   in Loop: Header=BB55_3 Depth=1
	s_or_b64 exec, exec, s[10:11]
	ds_bpermute_b32 v18, v29, v18
	ds_bpermute_b32 v19, v29, v17
	s_waitcnt lgkmcnt(5)
	ds_bpermute_b32 v20, v29, v30
	s_waitcnt lgkmcnt(5)
	ds_bpermute_b32 v21, v29, v31
	s_and_saveexec_b64 s[10:11], s[8:9]
	s_cbranch_execz .LBB55_2
; %bb.26:                               ;   in Loop: Header=BB55_3 Depth=1
	s_waitcnt lgkmcnt(2)
	v_pk_mov_b32 v[12:13], v[18:19], v[18:19] op_sel:[0,1]
	s_waitcnt lgkmcnt(0)
	v_pk_mov_b32 v[14:15], v[20:21], v[20:21] op_sel:[0,1]
	s_branch .LBB55_2
.LBB55_27:
	v_pk_mov_b32 v[2:3], 0, 0
	v_mov_b32_e32 v23, v17
	v_mov_b32_e32 v21, v17
	;; [unrolled: 1-line block ×3, first 2 shown]
	v_pk_mov_b32 v[14:15], 0, 0
	v_pk_mov_b32 v[0:1], v[16:17], v[16:17] op_sel:[0,1]
	v_pk_mov_b32 v[4:5], v[22:23], v[22:23] op_sel:[0,1]
	;; [unrolled: 1-line block ×6, first 2 shown]
.LBB55_28:
	s_load_dwordx2 s[0:1], s[4:5], 0x0
	v_lshl_or_b32 v16, s6, 10, v16
	v_mov_b32_e32 v17, 0
	v_lshlrev_b64 v[16:17], 4, v[16:17]
	s_waitcnt lgkmcnt(0)
	v_mov_b32_e32 v18, s1
	v_add_co_u32_e32 v16, vcc, s0, v16
	v_addc_co_u32_e32 v17, vcc, v18, v17, vcc
	global_store_dwordx4 v[16:17], v[0:3], off
	global_store_dwordx4 v[16:17], v[4:7], off offset:16
	global_store_dwordx4 v[16:17], v[8:11], off offset:32
	;; [unrolled: 1-line block ×3, first 2 shown]
	s_endpgm
	.section	.rodata,"a",@progbits
	.p2align	6, 0x0
	.amdhsa_kernel _Z20warp_exchange_kernelILj256ELj4ELj32EN6common25StripedToBlockedShuffleOpEnEvPT3_j
		.amdhsa_group_segment_fixed_size 0
		.amdhsa_private_segment_fixed_size 0
		.amdhsa_kernarg_size 12
		.amdhsa_user_sgpr_count 6
		.amdhsa_user_sgpr_private_segment_buffer 1
		.amdhsa_user_sgpr_dispatch_ptr 0
		.amdhsa_user_sgpr_queue_ptr 0
		.amdhsa_user_sgpr_kernarg_segment_ptr 1
		.amdhsa_user_sgpr_dispatch_id 0
		.amdhsa_user_sgpr_flat_scratch_init 0
		.amdhsa_user_sgpr_kernarg_preload_length 0
		.amdhsa_user_sgpr_kernarg_preload_offset 0
		.amdhsa_user_sgpr_private_segment_size 0
		.amdhsa_uses_dynamic_stack 0
		.amdhsa_system_sgpr_private_segment_wavefront_offset 0
		.amdhsa_system_sgpr_workgroup_id_x 1
		.amdhsa_system_sgpr_workgroup_id_y 0
		.amdhsa_system_sgpr_workgroup_id_z 0
		.amdhsa_system_sgpr_workgroup_info 0
		.amdhsa_system_vgpr_workitem_id 0
		.amdhsa_next_free_vgpr 37
		.amdhsa_next_free_sgpr 12
		.amdhsa_accum_offset 40
		.amdhsa_reserve_vcc 1
		.amdhsa_reserve_flat_scratch 0
		.amdhsa_float_round_mode_32 0
		.amdhsa_float_round_mode_16_64 0
		.amdhsa_float_denorm_mode_32 3
		.amdhsa_float_denorm_mode_16_64 3
		.amdhsa_dx10_clamp 1
		.amdhsa_ieee_mode 1
		.amdhsa_fp16_overflow 0
		.amdhsa_tg_split 0
		.amdhsa_exception_fp_ieee_invalid_op 0
		.amdhsa_exception_fp_denorm_src 0
		.amdhsa_exception_fp_ieee_div_zero 0
		.amdhsa_exception_fp_ieee_overflow 0
		.amdhsa_exception_fp_ieee_underflow 0
		.amdhsa_exception_fp_ieee_inexact 0
		.amdhsa_exception_int_div_zero 0
	.end_amdhsa_kernel
	.section	.text._Z20warp_exchange_kernelILj256ELj4ELj32EN6common25StripedToBlockedShuffleOpEnEvPT3_j,"axG",@progbits,_Z20warp_exchange_kernelILj256ELj4ELj32EN6common25StripedToBlockedShuffleOpEnEvPT3_j,comdat
.Lfunc_end55:
	.size	_Z20warp_exchange_kernelILj256ELj4ELj32EN6common25StripedToBlockedShuffleOpEnEvPT3_j, .Lfunc_end55-_Z20warp_exchange_kernelILj256ELj4ELj32EN6common25StripedToBlockedShuffleOpEnEvPT3_j
                                        ; -- End function
	.section	.AMDGPU.csdata,"",@progbits
; Kernel info:
; codeLenInByte = 1568
; NumSgprs: 16
; NumVgprs: 37
; NumAgprs: 0
; TotalNumVgprs: 37
; ScratchSize: 0
; MemoryBound: 0
; FloatMode: 240
; IeeeMode: 1
; LDSByteSize: 0 bytes/workgroup (compile time only)
; SGPRBlocks: 1
; VGPRBlocks: 4
; NumSGPRsForWavesPerEU: 16
; NumVGPRsForWavesPerEU: 37
; AccumOffset: 40
; Occupancy: 8
; WaveLimiterHint : 0
; COMPUTE_PGM_RSRC2:SCRATCH_EN: 0
; COMPUTE_PGM_RSRC2:USER_SGPR: 6
; COMPUTE_PGM_RSRC2:TRAP_HANDLER: 0
; COMPUTE_PGM_RSRC2:TGID_X_EN: 1
; COMPUTE_PGM_RSRC2:TGID_Y_EN: 0
; COMPUTE_PGM_RSRC2:TGID_Z_EN: 0
; COMPUTE_PGM_RSRC2:TIDIG_COMP_CNT: 0
; COMPUTE_PGM_RSRC3_GFX90A:ACCUM_OFFSET: 9
; COMPUTE_PGM_RSRC3_GFX90A:TG_SPLIT: 0
	.section	.text._Z20warp_exchange_kernelILj256ELj16ELj16EN6common25StripedToBlockedShuffleOpEnEvPT3_j,"axG",@progbits,_Z20warp_exchange_kernelILj256ELj16ELj16EN6common25StripedToBlockedShuffleOpEnEvPT3_j,comdat
	.protected	_Z20warp_exchange_kernelILj256ELj16ELj16EN6common25StripedToBlockedShuffleOpEnEvPT3_j ; -- Begin function _Z20warp_exchange_kernelILj256ELj16ELj16EN6common25StripedToBlockedShuffleOpEnEvPT3_j
	.globl	_Z20warp_exchange_kernelILj256ELj16ELj16EN6common25StripedToBlockedShuffleOpEnEvPT3_j
	.p2align	8
	.type	_Z20warp_exchange_kernelILj256ELj16ELj16EN6common25StripedToBlockedShuffleOpEnEvPT3_j,@function
_Z20warp_exchange_kernelILj256ELj16ELj16EN6common25StripedToBlockedShuffleOpEnEvPT3_j: ; @_Z20warp_exchange_kernelILj256ELj16ELj16EN6common25StripedToBlockedShuffleOpEnEvPT3_j
; %bb.0:
	s_add_u32 s0, s0, s9
	s_load_dword s9, s[4:5], 0x8
	s_addc_u32 s1, s1, 0
	v_lshlrev_b32_e32 v64, 4, v0
	v_or_b32_e32 v56, 1, v64
	v_or_b32_e32 v52, 2, v64
	;; [unrolled: 1-line block ×14, first 2 shown]
	s_waitcnt lgkmcnt(0)
	s_cmp_eq_u32 s9, 0
	v_or_b32_e32 v20, 15, v64
	s_cbranch_scc1 .LBB56_3
; %bb.1:
	v_mbcnt_lo_u32_b32 v1, -1, 0
	v_mbcnt_hi_u32_b32 v1, -1, v1
	v_and_b32_e32 v2, 8, v1
	v_mov_b32_e32 v5, 0x90
	v_cmp_eq_u32_e32 vcc, 0, v2
	v_mov_b32_e32 v6, 0xa0
	v_mov_b32_e32 v10, 0xb0
	;; [unrolled: 1-line block ×9, first 2 shown]
	v_and_b32_e32 v39, 4, v1
	v_lshlrev_b32_e32 v3, 4, v2
	v_cndmask_b32_e32 v2, 16, v5, vcc
	v_cndmask_b32_e32 v7, 32, v6, vcc
	;; [unrolled: 1-line block ×7, first 2 shown]
	v_cmp_eq_u32_e32 vcc, 0, v39
	v_mov_b32_e32 v45, 0x80
	v_and_b32_e32 v51, 2, v1
	v_and_b32_e32 v1, 1, v1
	v_mov_b32_e32 v21, 0
	v_lshlrev_b32_e32 v41, 4, v39
	v_cndmask_b32_e32 v39, 16, v18, vcc
	v_cndmask_b32_e32 v42, 32, v27, vcc
	;; [unrolled: 1-line block ×7, first 2 shown]
	v_lshlrev_b32_e32 v53, 4, v51
	v_cmp_eq_u32_e32 vcc, 0, v51
	v_cmp_eq_u32_e64 s[6:7], 0, v1
	v_lshlrev_b32_e32 v1, 4, v1
	v_mov_b32_e32 v65, v21
	v_xor_b32_e32 v3, 0x80, v3
	v_xor_b32_e32 v41, 64, v41
	;; [unrolled: 1-line block ×3, first 2 shown]
	v_cndmask_b32_e64 v51, 16, 48, vcc
	v_cndmask_b32_e32 v54, 64, v27, vcc
	v_cndmask_b32_e32 v55, v18, v34, vcc
	;; [unrolled: 1-line block ×3, first 2 shown]
	v_cndmask_b32_e64 v58, 32, 48, s[6:7]
	v_cndmask_b32_e64 v27, v27, v34, s[6:7]
	v_cndmask_b32_e32 v34, v5, v10, vcc
	v_cndmask_b32_e64 v5, v45, v5, s[6:7]
	v_cndmask_b32_e32 v45, v14, v30, vcc
	;; [unrolled: 2-line block ×3, first 2 shown]
	v_xor_b32_e32 v1, 16, v1
	v_cndmask_b32_e64 v18, 64, v18, s[6:7]
	v_cndmask_b32_e64 v14, v14, v19, s[6:7]
	;; [unrolled: 1-line block ×3, first 2 shown]
	v_pk_mov_b32 v[22:23], 0, 0
	v_mov_b32_e32 v33, v21
	v_mov_b32_e32 v25, v21
	;; [unrolled: 1-line block ×7, first 2 shown]
	v_add_u32_e32 v66, 0, v3
	v_add_u32_e32 v67, 0, v2
	;; [unrolled: 1-line block ×32, first 2 shown]
	v_pk_mov_b32 v[34:35], 0, 0
	v_pk_mov_b32 v[26:27], 0, 0
	v_pk_mov_b32 v[38:39], 0, 0
	v_pk_mov_b32 v[10:11], 0, 0
	v_pk_mov_b32 v[18:19], 0, 0
	v_pk_mov_b32 v[14:15], 0, 0
	v_pk_mov_b32 v[30:31], 0, 0
	v_mov_b32_e32 v1, v21
	v_pk_mov_b32 v[2:3], 0, 0
	v_mov_b32_e32 v5, v21
	v_pk_mov_b32 v[6:7], 0, 0
	;; [unrolled: 2-line block ×7, first 2 shown]
	v_pk_mov_b32 v[62:63], 0, 0
	v_pk_mov_b32 v[60:61], v[64:65], v[64:65] op_sel:[0,1]
.LBB56_2:                               ; =>This Inner Loop Header: Depth=1
	s_waitcnt vmcnt(62)
	buffer_store_dword v61, off, s[0:3], 0 offset:4
	buffer_store_dword v60, off, s[0:3], 0
	buffer_store_dword v63, off, s[0:3], 0 offset:12
	buffer_store_dword v62, off, s[0:3], 0 offset:8
	;; [unrolled: 1-line block ×6, first 2 shown]
	s_waitcnt vmcnt(62)
	buffer_store_dword v53, off, s[0:3], 0 offset:36
	buffer_store_dword v52, off, s[0:3], 0 offset:32
	;; [unrolled: 1-line block ×8, first 2 shown]
	s_waitcnt vmcnt(62)
	buffer_store_dword v45, off, s[0:3], 0 offset:68
	buffer_store_dword v44, off, s[0:3], 0 offset:64
	;; [unrolled: 1-line block ×16, first 2 shown]
	s_waitcnt vmcnt(62)
	buffer_store_dword v29, off, s[0:3], 0 offset:132
	buffer_store_dword v28, off, s[0:3], 0 offset:128
	;; [unrolled: 1-line block ×10, first 2 shown]
	s_waitcnt vmcnt(62)
	buffer_store_dword v19, off, s[0:3], 0 offset:172
	buffer_store_dword v18, off, s[0:3], 0 offset:168
	buffer_store_dword v9, off, s[0:3], 0 offset:180
	buffer_store_dword v8, off, s[0:3], 0 offset:176
	buffer_store_dword v11, off, s[0:3], 0 offset:188
	buffer_store_dword v10, off, s[0:3], 0 offset:184
	s_waitcnt vmcnt(62)
	buffer_store_dword v37, off, s[0:3], 0 offset:196
	buffer_store_dword v36, off, s[0:3], 0 offset:192
	s_waitcnt vmcnt(62)
	buffer_store_dword v39, off, s[0:3], 0 offset:204
	buffer_store_dword v38, off, s[0:3], 0 offset:200
	;; [unrolled: 3-line block ×8, first 2 shown]
	buffer_load_dword v0, v66, s[0:3], 0 offen offset:12
	buffer_load_dword v1, v66, s[0:3], 0 offen offset:8
	;; [unrolled: 1-line block ×3, first 2 shown]
	buffer_load_dword v3, v66, s[0:3], 0 offen
	s_add_i32 s9, s9, -1
	s_cmp_lg_u32 s9, 0
	s_waitcnt vmcnt(3)
	ds_swizzle_b32 v0, v0 offset:swizzle(SWAP,8)
	s_waitcnt vmcnt(2)
	ds_swizzle_b32 v1, v1 offset:swizzle(SWAP,8)
	s_waitcnt vmcnt(1)
	ds_swizzle_b32 v2, v2 offset:swizzle(SWAP,8)
	s_waitcnt vmcnt(0)
	ds_swizzle_b32 v3, v3 offset:swizzle(SWAP,8)
	s_waitcnt lgkmcnt(3)
	buffer_store_dword v0, v66, s[0:3], 0 offen offset:12
	s_waitcnt lgkmcnt(2)
	buffer_store_dword v1, v66, s[0:3], 0 offen offset:8
	s_waitcnt lgkmcnt(1)
	buffer_store_dword v2, v66, s[0:3], 0 offen offset:4
	s_waitcnt lgkmcnt(0)
	buffer_store_dword v3, v66, s[0:3], 0 offen
	buffer_load_dword v0, v67, s[0:3], 0 offen offset:12
	buffer_load_dword v1, v67, s[0:3], 0 offen offset:8
	buffer_load_dword v2, v67, s[0:3], 0 offen offset:4
	s_nop 0
	buffer_load_dword v3, v67, s[0:3], 0 offen
	s_waitcnt vmcnt(3)
	ds_swizzle_b32 v0, v0 offset:swizzle(SWAP,8)
	s_waitcnt vmcnt(2)
	ds_swizzle_b32 v1, v1 offset:swizzle(SWAP,8)
	s_waitcnt vmcnt(1)
	ds_swizzle_b32 v2, v2 offset:swizzle(SWAP,8)
	s_waitcnt vmcnt(0)
	ds_swizzle_b32 v3, v3 offset:swizzle(SWAP,8)
	s_waitcnt lgkmcnt(3)
	buffer_store_dword v0, v67, s[0:3], 0 offen offset:12
	s_waitcnt lgkmcnt(2)
	buffer_store_dword v1, v67, s[0:3], 0 offen offset:8
	s_waitcnt lgkmcnt(1)
	buffer_store_dword v2, v67, s[0:3], 0 offen offset:4
	s_waitcnt lgkmcnt(0)
	buffer_store_dword v3, v67, s[0:3], 0 offen
	buffer_load_dword v0, v68, s[0:3], 0 offen offset:12
	buffer_load_dword v1, v68, s[0:3], 0 offen offset:8
	buffer_load_dword v2, v68, s[0:3], 0 offen offset:4
	s_nop 0
	buffer_load_dword v3, v68, s[0:3], 0 offen
	;; [unrolled: 21-line block ×4, first 2 shown]
	s_waitcnt vmcnt(3)
	ds_swizzle_b32 v0, v0 offset:swizzle(SWAP,8)
	s_waitcnt vmcnt(2)
	ds_swizzle_b32 v1, v1 offset:swizzle(SWAP,8)
	;; [unrolled: 2-line block ×4, first 2 shown]
	s_waitcnt lgkmcnt(3)
	buffer_store_dword v0, v70, s[0:3], 0 offen offset:12
	s_waitcnt lgkmcnt(2)
	buffer_store_dword v1, v70, s[0:3], 0 offen offset:8
	;; [unrolled: 2-line block ×3, first 2 shown]
	s_waitcnt lgkmcnt(0)
	buffer_store_dword v3, v70, s[0:3], 0 offen
	buffer_load_dword v0, v71, s[0:3], 0 offen
	buffer_load_dword v1, v71, s[0:3], 0 offen offset:12
	buffer_load_dword v2, v71, s[0:3], 0 offen offset:8
	s_nop 0
	buffer_load_dword v3, v71, s[0:3], 0 offen offset:4
	buffer_load_dword v4, v74, s[0:3], 0 offen
	buffer_load_dword v5, v74, s[0:3], 0 offen offset:12
	s_waitcnt vmcnt(5)
	ds_swizzle_b32 v0, v0 offset:swizzle(SWAP,8)
	s_waitcnt vmcnt(4)
	ds_swizzle_b32 v1, v1 offset:swizzle(SWAP,8)
	;; [unrolled: 2-line block ×6, first 2 shown]
	s_waitcnt lgkmcnt(4)
	buffer_store_dword v1, v71, s[0:3], 0 offen offset:12
	s_waitcnt lgkmcnt(3)
	buffer_store_dword v2, v71, s[0:3], 0 offen offset:8
	;; [unrolled: 2-line block ×3, first 2 shown]
	buffer_store_dword v0, v71, s[0:3], 0 offen
	s_waitcnt lgkmcnt(0)
	buffer_store_dword v5, v74, s[0:3], 0 offen offset:12
	buffer_store_dword v4, v74, s[0:3], 0 offen
	buffer_load_dword v0, v72, s[0:3], 0 offen offset:12
	buffer_load_dword v1, v72, s[0:3], 0 offen offset:8
	;; [unrolled: 1-line block ×3, first 2 shown]
	buffer_load_dword v3, v72, s[0:3], 0 offen
	s_nop 0
	buffer_load_dword v4, v74, s[0:3], 0 offen offset:4
	s_waitcnt vmcnt(4)
	ds_swizzle_b32 v0, v0 offset:swizzle(SWAP,8)
	s_waitcnt vmcnt(3)
	ds_swizzle_b32 v1, v1 offset:swizzle(SWAP,8)
	;; [unrolled: 2-line block ×5, first 2 shown]
	s_waitcnt lgkmcnt(4)
	buffer_store_dword v0, v72, s[0:3], 0 offen offset:12
	s_waitcnt lgkmcnt(3)
	buffer_store_dword v1, v72, s[0:3], 0 offen offset:8
	;; [unrolled: 2-line block ×3, first 2 shown]
	s_waitcnt lgkmcnt(1)
	buffer_store_dword v3, v72, s[0:3], 0 offen
	s_waitcnt lgkmcnt(0)
	buffer_store_dword v4, v74, s[0:3], 0 offen offset:4
	buffer_load_dword v0, v73, s[0:3], 0 offen offset:12
	buffer_load_dword v1, v73, s[0:3], 0 offen offset:8
	;; [unrolled: 1-line block ×3, first 2 shown]
	buffer_load_dword v3, v73, s[0:3], 0 offen
	s_nop 0
	buffer_load_dword v4, v74, s[0:3], 0 offen offset:8
	s_waitcnt vmcnt(4)
	ds_swizzle_b32 v0, v0 offset:swizzle(SWAP,8)
	s_waitcnt vmcnt(3)
	ds_swizzle_b32 v1, v1 offset:swizzle(SWAP,8)
	;; [unrolled: 2-line block ×5, first 2 shown]
	s_waitcnt lgkmcnt(4)
	buffer_store_dword v0, v73, s[0:3], 0 offen offset:12
	s_waitcnt lgkmcnt(3)
	buffer_store_dword v1, v73, s[0:3], 0 offen offset:8
	;; [unrolled: 2-line block ×3, first 2 shown]
	s_waitcnt lgkmcnt(1)
	buffer_store_dword v3, v73, s[0:3], 0 offen
	s_waitcnt lgkmcnt(0)
	buffer_store_dword v4, v74, s[0:3], 0 offen offset:8
	buffer_load_dword v0, v75, s[0:3], 0 offen
	buffer_load_dword v1, v75, s[0:3], 0 offen offset:12
	buffer_load_dword v2, v75, s[0:3], 0 offen offset:8
	;; [unrolled: 1-line block ×3, first 2 shown]
	s_nop 0
	buffer_load_dword v4, v78, s[0:3], 0 offen
	buffer_load_dword v5, v78, s[0:3], 0 offen offset:12
	s_waitcnt vmcnt(5)
	ds_swizzle_b32 v0, v0 offset:swizzle(SWAP,4)
	s_waitcnt vmcnt(4)
	ds_swizzle_b32 v1, v1 offset:swizzle(SWAP,4)
	;; [unrolled: 2-line block ×6, first 2 shown]
	s_waitcnt lgkmcnt(4)
	buffer_store_dword v1, v75, s[0:3], 0 offen offset:12
	s_waitcnt lgkmcnt(3)
	buffer_store_dword v2, v75, s[0:3], 0 offen offset:8
	;; [unrolled: 2-line block ×3, first 2 shown]
	buffer_store_dword v0, v75, s[0:3], 0 offen
	s_waitcnt lgkmcnt(0)
	buffer_store_dword v5, v78, s[0:3], 0 offen offset:12
	buffer_store_dword v4, v78, s[0:3], 0 offen
	buffer_load_dword v0, v76, s[0:3], 0 offen offset:12
	buffer_load_dword v1, v76, s[0:3], 0 offen offset:8
	;; [unrolled: 1-line block ×3, first 2 shown]
	buffer_load_dword v3, v76, s[0:3], 0 offen
	s_nop 0
	buffer_load_dword v4, v78, s[0:3], 0 offen offset:4
	s_waitcnt vmcnt(4)
	ds_swizzle_b32 v0, v0 offset:swizzle(SWAP,4)
	s_waitcnt vmcnt(3)
	ds_swizzle_b32 v1, v1 offset:swizzle(SWAP,4)
	;; [unrolled: 2-line block ×5, first 2 shown]
	s_waitcnt lgkmcnt(4)
	buffer_store_dword v0, v76, s[0:3], 0 offen offset:12
	s_waitcnt lgkmcnt(3)
	buffer_store_dword v1, v76, s[0:3], 0 offen offset:8
	;; [unrolled: 2-line block ×3, first 2 shown]
	s_waitcnt lgkmcnt(1)
	buffer_store_dword v3, v76, s[0:3], 0 offen
	s_waitcnt lgkmcnt(0)
	buffer_store_dword v4, v78, s[0:3], 0 offen offset:4
	buffer_load_dword v0, v77, s[0:3], 0 offen
	buffer_load_dword v1, v77, s[0:3], 0 offen offset:12
	buffer_load_dword v2, v77, s[0:3], 0 offen offset:8
	;; [unrolled: 1-line block ×3, first 2 shown]
	s_nop 0
	buffer_load_dword v4, v78, s[0:3], 0 offen offset:8
	buffer_load_dword v5, v82, s[0:3], 0 offen
	s_waitcnt vmcnt(5)
	ds_swizzle_b32 v0, v0 offset:swizzle(SWAP,4)
	s_waitcnt vmcnt(4)
	ds_swizzle_b32 v1, v1 offset:swizzle(SWAP,4)
	;; [unrolled: 2-line block ×6, first 2 shown]
	s_waitcnt lgkmcnt(4)
	buffer_store_dword v1, v77, s[0:3], 0 offen offset:12
	s_waitcnt lgkmcnt(3)
	buffer_store_dword v2, v77, s[0:3], 0 offen offset:8
	;; [unrolled: 2-line block ×3, first 2 shown]
	buffer_store_dword v0, v77, s[0:3], 0 offen
	s_waitcnt lgkmcnt(1)
	buffer_store_dword v4, v78, s[0:3], 0 offen offset:8
	s_waitcnt lgkmcnt(0)
	buffer_store_dword v5, v82, s[0:3], 0 offen
	buffer_load_dword v0, v79, s[0:3], 0 offen
	buffer_load_dword v1, v79, s[0:3], 0 offen offset:12
	buffer_load_dword v2, v79, s[0:3], 0 offen offset:8
	;; [unrolled: 1-line block ×4, first 2 shown]
	buffer_load_dword v5, v84, s[0:3], 0 offen
	s_waitcnt vmcnt(5)
	ds_swizzle_b32 v0, v0 offset:swizzle(SWAP,4)
	s_waitcnt vmcnt(4)
	ds_swizzle_b32 v1, v1 offset:swizzle(SWAP,4)
	;; [unrolled: 2-line block ×6, first 2 shown]
	s_waitcnt lgkmcnt(4)
	buffer_store_dword v1, v79, s[0:3], 0 offen offset:12
	s_waitcnt lgkmcnt(3)
	buffer_store_dword v2, v79, s[0:3], 0 offen offset:8
	;; [unrolled: 2-line block ×3, first 2 shown]
	buffer_store_dword v0, v79, s[0:3], 0 offen
	s_waitcnt lgkmcnt(1)
	buffer_store_dword v4, v82, s[0:3], 0 offen offset:4
	s_waitcnt lgkmcnt(0)
	buffer_store_dword v5, v84, s[0:3], 0 offen
	buffer_load_dword v0, v80, s[0:3], 0 offen
	buffer_load_dword v1, v80, s[0:3], 0 offen offset:12
	buffer_load_dword v2, v80, s[0:3], 0 offen offset:8
	buffer_load_dword v3, v80, s[0:3], 0 offen offset:4
	buffer_load_dword v4, v82, s[0:3], 0 offen offset:8
	buffer_load_dword v5, v84, s[0:3], 0 offen offset:4
	s_waitcnt vmcnt(5)
	ds_swizzle_b32 v0, v0 offset:swizzle(SWAP,4)
	s_waitcnt vmcnt(4)
	ds_swizzle_b32 v1, v1 offset:swizzle(SWAP,4)
	;; [unrolled: 2-line block ×6, first 2 shown]
	s_waitcnt lgkmcnt(4)
	buffer_store_dword v1, v80, s[0:3], 0 offen offset:12
	s_waitcnt lgkmcnt(3)
	buffer_store_dword v2, v80, s[0:3], 0 offen offset:8
	;; [unrolled: 2-line block ×3, first 2 shown]
	buffer_store_dword v0, v80, s[0:3], 0 offen
	s_waitcnt lgkmcnt(1)
	buffer_store_dword v4, v82, s[0:3], 0 offen offset:8
	s_waitcnt lgkmcnt(0)
	buffer_store_dword v5, v84, s[0:3], 0 offen offset:4
	buffer_load_dword v0, v81, s[0:3], 0 offen
	buffer_load_dword v1, v81, s[0:3], 0 offen offset:4
	buffer_load_dword v2, v81, s[0:3], 0 offen offset:8
	buffer_load_dword v3, v81, s[0:3], 0 offen offset:12
	buffer_load_dword v4, v82, s[0:3], 0 offen offset:12
	buffer_load_dword v5, v84, s[0:3], 0 offen offset:8
	buffer_load_dword v6, v86, s[0:3], 0 offen
	buffer_load_dword v7, v86, s[0:3], 0 offen offset:12
	s_waitcnt vmcnt(7)
	ds_swizzle_b32 v0, v0 offset:swizzle(SWAP,4)
	s_waitcnt vmcnt(6)
	ds_swizzle_b32 v1, v1 offset:swizzle(SWAP,4)
	s_waitcnt vmcnt(5)
	ds_swizzle_b32 v2, v2 offset:swizzle(SWAP,4)
	s_waitcnt vmcnt(4)
	ds_swizzle_b32 v3, v3 offset:swizzle(SWAP,4)
	s_waitcnt vmcnt(3)
	ds_swizzle_b32 v4, v4 offset:swizzle(SWAP,2)
	s_waitcnt vmcnt(2)
	ds_swizzle_b32 v5, v5 offset:swizzle(SWAP,2)
	s_waitcnt vmcnt(1)
	ds_swizzle_b32 v6, v6 offset:swizzle(SWAP,2)
	s_waitcnt vmcnt(0)
	ds_swizzle_b32 v7, v7 offset:swizzle(SWAP,2)
	s_waitcnt lgkmcnt(4)
	buffer_store_dword v3, v81, s[0:3], 0 offen offset:12
	buffer_store_dword v2, v81, s[0:3], 0 offen offset:8
	buffer_store_dword v1, v81, s[0:3], 0 offen offset:4
	buffer_store_dword v0, v81, s[0:3], 0 offen
	s_waitcnt lgkmcnt(3)
	buffer_store_dword v4, v82, s[0:3], 0 offen offset:12
	s_waitcnt lgkmcnt(2)
	buffer_store_dword v5, v84, s[0:3], 0 offen offset:8
	s_waitcnt lgkmcnt(0)
	buffer_store_dword v7, v86, s[0:3], 0 offen offset:12
	buffer_store_dword v6, v86, s[0:3], 0 offen
	buffer_load_dword v0, v83, s[0:3], 0 offen
	buffer_load_dword v1, v83, s[0:3], 0 offen offset:4
	buffer_load_dword v2, v83, s[0:3], 0 offen offset:8
	buffer_load_dword v3, v83, s[0:3], 0 offen offset:12
	buffer_load_dword v4, v84, s[0:3], 0 offen offset:12
	buffer_load_dword v5, v86, s[0:3], 0 offen offset:4
	buffer_load_dword v6, v88, s[0:3], 0 offen
	buffer_load_dword v7, v88, s[0:3], 0 offen offset:12
	s_waitcnt vmcnt(7)
	ds_swizzle_b32 v0, v0 offset:swizzle(SWAP,2)
	s_waitcnt vmcnt(6)
	ds_swizzle_b32 v1, v1 offset:swizzle(SWAP,2)
	s_waitcnt vmcnt(5)
	ds_swizzle_b32 v2, v2 offset:swizzle(SWAP,2)
	s_waitcnt vmcnt(4)
	ds_swizzle_b32 v3, v3 offset:swizzle(SWAP,2)
	s_waitcnt vmcnt(3)
	ds_swizzle_b32 v4, v4 offset:swizzle(SWAP,2)
	s_waitcnt vmcnt(2)
	ds_swizzle_b32 v5, v5 offset:swizzle(SWAP,2)
	s_waitcnt vmcnt(1)
	ds_swizzle_b32 v6, v6 offset:swizzle(SWAP,2)
	s_waitcnt vmcnt(0)
	ds_swizzle_b32 v7, v7 offset:swizzle(SWAP,2)
	s_waitcnt lgkmcnt(4)
	buffer_store_dword v3, v83, s[0:3], 0 offen offset:12
	buffer_store_dword v2, v83, s[0:3], 0 offen offset:8
	buffer_store_dword v1, v83, s[0:3], 0 offen offset:4
	buffer_store_dword v0, v83, s[0:3], 0 offen
	s_waitcnt lgkmcnt(3)
	buffer_store_dword v4, v84, s[0:3], 0 offen offset:12
	s_waitcnt lgkmcnt(2)
	buffer_store_dword v5, v86, s[0:3], 0 offen offset:4
	s_waitcnt lgkmcnt(0)
	buffer_store_dword v7, v88, s[0:3], 0 offen offset:12
	buffer_store_dword v6, v88, s[0:3], 0 offen
	;; [unrolled: 36-line block ×3, first 2 shown]
	buffer_load_dword v0, v87, s[0:3], 0 offen
	buffer_load_dword v1, v87, s[0:3], 0 offen offset:4
	buffer_load_dword v2, v87, s[0:3], 0 offen offset:8
	;; [unrolled: 1-line block ×5, first 2 shown]
	buffer_load_dword v6, v91, s[0:3], 0 offen
	buffer_load_dword v7, v91, s[0:3], 0 offen offset:8
	buffer_load_dword v8, v92, s[0:3], 0 offen offset:4
	;; [unrolled: 1-line block ×4, first 2 shown]
	buffer_load_dword v11, v93, s[0:3], 0 offen
	buffer_load_dword v12, v93, s[0:3], 0 offen offset:4
	buffer_load_dword v13, v93, s[0:3], 0 offen offset:8
	;; [unrolled: 1-line block ×3, first 2 shown]
	s_waitcnt vmcnt(14)
	ds_swizzle_b32 v0, v0 offset:swizzle(SWAP,2)
	s_waitcnt vmcnt(13)
	ds_swizzle_b32 v1, v1 offset:swizzle(SWAP,2)
	;; [unrolled: 2-line block ×8, first 2 shown]
	s_waitcnt lgkmcnt(4)
	buffer_store_dword v3, v87, s[0:3], 0 offen offset:12
	buffer_store_dword v2, v87, s[0:3], 0 offen offset:8
	;; [unrolled: 1-line block ×3, first 2 shown]
	buffer_store_dword v0, v87, s[0:3], 0 offen
	s_waitcnt lgkmcnt(3)
	buffer_store_dword v4, v88, s[0:3], 0 offen offset:8
	s_waitcnt lgkmcnt(2)
	buffer_store_dword v5, v90, s[0:3], 0 offen offset:4
	;; [unrolled: 2-line block ×3, first 2 shown]
	buffer_store_dword v6, v91, s[0:3], 0 offen
	buffer_load_dword v15, v89, s[0:3], 0 offen
	buffer_load_dword v16, v89, s[0:3], 0 offen offset:4
	buffer_load_dword v17, v89, s[0:3], 0 offen offset:8
	;; [unrolled: 1-line block ×6, first 2 shown]
	buffer_load_dword v22, v92, s[0:3], 0 offen
	buffer_load_dword v23, v94, s[0:3], 0 offen
	buffer_load_dword v24, v94, s[0:3], 0 offen offset:4
	buffer_load_dword v25, v94, s[0:3], 0 offen offset:8
	;; [unrolled: 1-line block ×3, first 2 shown]
	buffer_load_dword v27, v95, s[0:3], 0 offen
	buffer_load_dword v28, v95, s[0:3], 0 offen offset:4
	buffer_load_dword v29, v95, s[0:3], 0 offen offset:8
	;; [unrolled: 1-line block ×3, first 2 shown]
	s_waitcnt vmcnt(28)
	ds_swizzle_b32 v2, v10 offset:swizzle(SWAP,1)
	ds_swizzle_b32 v1, v9 offset:swizzle(SWAP,1)
	s_waitcnt vmcnt(27)
	ds_swizzle_b32 v3, v11 offset:swizzle(SWAP,1)
	ds_swizzle_b32 v0, v8 offset:swizzle(SWAP,1)
	;; [unrolled: 3-line block ×3, first 2 shown]
	ds_swizzle_b32 v4, v12 offset:swizzle(SWAP,1)
	s_waitcnt lgkmcnt(6)
	buffer_store_dword v2, v92, s[0:3], 0 offen offset:12
	s_waitcnt lgkmcnt(5)
	buffer_store_dword v1, v92, s[0:3], 0 offen offset:8
	;; [unrolled: 2-line block ×6, first 2 shown]
	buffer_store_dword v3, v93, s[0:3], 0 offen
	buffer_load_dword v4, off, s[0:3], 0 offset:96
	s_nop 0
	buffer_load_dword v5, off, s[0:3], 0 offset:100
	buffer_load_dword v6, off, s[0:3], 0 offset:104
	;; [unrolled: 1-line block ×7, first 2 shown]
	s_waitcnt vmcnt(30)
	ds_swizzle_b32 v8, v15 offset:swizzle(SWAP,2)
	s_waitcnt vmcnt(29)
	ds_swizzle_b32 v9, v16 offset:swizzle(SWAP,2)
	;; [unrolled: 2-line block ×9, first 2 shown]
	s_waitcnt lgkmcnt(5)
	buffer_store_dword v11, v89, s[0:3], 0 offen offset:12
	buffer_store_dword v10, v89, s[0:3], 0 offen offset:8
	;; [unrolled: 1-line block ×3, first 2 shown]
	buffer_store_dword v8, v89, s[0:3], 0 offen
	s_waitcnt lgkmcnt(4)
	buffer_store_dword v12, v90, s[0:3], 0 offen offset:8
	s_waitcnt lgkmcnt(2)
	buffer_store_dword v14, v91, s[0:3], 0 offen offset:12
	buffer_store_dword v13, v91, s[0:3], 0 offen offset:4
	s_waitcnt lgkmcnt(1)
	buffer_store_dword v15, v92, s[0:3], 0 offen
	s_waitcnt lgkmcnt(0)
	buffer_store_dword v16, v94, s[0:3], 0 offen
	buffer_load_dword v20, v96, s[0:3], 0 offen
	buffer_load_dword v21, v96, s[0:3], 0 offen offset:4
	buffer_load_dword v22, v96, s[0:3], 0 offen offset:8
	;; [unrolled: 1-line block ×3, first 2 shown]
	buffer_load_dword v32, v97, s[0:3], 0 offen
	buffer_load_dword v33, v97, s[0:3], 0 offen offset:4
	buffer_load_dword v34, v97, s[0:3], 0 offen offset:8
	;; [unrolled: 1-line block ×3, first 2 shown]
	buffer_load_dword v60, off, s[0:3], 0
	buffer_load_dword v61, off, s[0:3], 0 offset:4
	buffer_load_dword v62, off, s[0:3], 0 offset:8
	;; [unrolled: 1-line block ×23, first 2 shown]
	s_waitcnt vmcnt(60)
	ds_swizzle_b32 v10, v26 offset:swizzle(SWAP,1)
	ds_swizzle_b32 v9, v25 offset:swizzle(SWAP,1)
	;; [unrolled: 1-line block ×3, first 2 shown]
	s_waitcnt vmcnt(56)
	ds_swizzle_b32 v14, v30 offset:swizzle(SWAP,1)
	ds_swizzle_b32 v13, v29 offset:swizzle(SWAP,1)
	;; [unrolled: 1-line block ×4, first 2 shown]
	s_waitcnt lgkmcnt(6)
	buffer_store_dword v10, v94, s[0:3], 0 offen offset:12
	s_waitcnt lgkmcnt(5)
	buffer_store_dword v9, v94, s[0:3], 0 offen offset:8
	;; [unrolled: 2-line block ×6, first 2 shown]
	buffer_store_dword v11, v95, s[0:3], 0 offen
	buffer_load_dword v28, off, s[0:3], 0 offset:128
	buffer_load_dword v29, off, s[0:3], 0 offset:132
	buffer_load_dword v30, off, s[0:3], 0 offset:136
	buffer_load_dword v31, off, s[0:3], 0 offset:140
	buffer_load_dword v12, off, s[0:3], 0 offset:144
	buffer_load_dword v13, off, s[0:3], 0 offset:148
	buffer_load_dword v14, off, s[0:3], 0 offset:152
	buffer_load_dword v15, off, s[0:3], 0 offset:156
	buffer_load_dword v16, off, s[0:3], 0 offset:160
	buffer_load_dword v17, off, s[0:3], 0 offset:164
	buffer_load_dword v18, off, s[0:3], 0 offset:168
	buffer_load_dword v19, off, s[0:3], 0 offset:172
	buffer_load_dword v8, off, s[0:3], 0 offset:176
	buffer_load_dword v9, off, s[0:3], 0 offset:180
	buffer_load_dword v10, off, s[0:3], 0 offset:184
	buffer_load_dword v11, off, s[0:3], 0 offset:188
	s_waitcnt vmcnt(54)
	ds_swizzle_b32 v20, v20 offset:swizzle(SWAP,1)
	s_waitcnt vmcnt(53)
	ds_swizzle_b32 v21, v21 offset:swizzle(SWAP,1)
	;; [unrolled: 2-line block ×8, first 2 shown]
	s_waitcnt lgkmcnt(4)
	buffer_store_dword v23, v96, s[0:3], 0 offen offset:12
	buffer_store_dword v22, v96, s[0:3], 0 offen offset:8
	;; [unrolled: 1-line block ×3, first 2 shown]
	buffer_store_dword v20, v96, s[0:3], 0 offen
	s_waitcnt lgkmcnt(0)
	buffer_store_dword v27, v97, s[0:3], 0 offen offset:12
	buffer_store_dword v26, v97, s[0:3], 0 offen offset:8
	;; [unrolled: 1-line block ×3, first 2 shown]
	buffer_store_dword v24, v97, s[0:3], 0 offen
	buffer_load_dword v36, off, s[0:3], 0 offset:192
	buffer_load_dword v37, off, s[0:3], 0 offset:196
	;; [unrolled: 1-line block ×4, first 2 shown]
	s_nop 0
	buffer_load_dword v24, off, s[0:3], 0 offset:208
	buffer_load_dword v25, off, s[0:3], 0 offset:212
	;; [unrolled: 1-line block ×12, first 2 shown]
	; wave barrier
	s_cbranch_scc1 .LBB56_2
	s_branch .LBB56_4
.LBB56_3:
	v_mov_b32_e32 v65, 0
	v_pk_mov_b32 v[22:23], 0, 0
	v_pk_mov_b32 v[62:63], 0, 0
	v_mov_b32_e32 v57, v65
	v_mov_b32_e32 v53, v65
	;; [unrolled: 1-line block ×13, first 2 shown]
	v_pk_mov_b32 v[60:61], v[64:65], v[64:65] op_sel:[0,1]
	v_pk_mov_b32 v[58:59], 0, 0
	v_pk_mov_b32 v[54:55], 0, 0
	;; [unrolled: 1-line block ×12, first 2 shown]
	v_mov_b32_e32 v25, v65
	v_pk_mov_b32 v[26:27], 0, 0
	v_mov_b32_e32 v33, v65
	v_pk_mov_b32 v[34:35], 0, 0
.LBB56_4:
	s_load_dwordx2 s[4:5], s[4:5], 0x0
	v_lshl_or_b32 v64, s8, 12, v64
	v_mov_b32_e32 v65, 0
	v_lshlrev_b64 v[64:65], 4, v[64:65]
	s_waitcnt lgkmcnt(0)
	v_mov_b32_e32 v66, s5
	v_add_co_u32_e32 v64, vcc, s4, v64
	v_addc_co_u32_e32 v65, vcc, v66, v65, vcc
	s_waitcnt vmcnt(62)
	global_store_dwordx4 v[64:65], v[60:63], off
	global_store_dwordx4 v[64:65], v[56:59], off offset:16
	s_waitcnt vmcnt(61)
	global_store_dwordx4 v[64:65], v[52:55], off offset:32
	s_waitcnt vmcnt(58)
	;; [unrolled: 2-line block ×4, first 2 shown]
	global_store_dwordx4 v[64:65], v[40:43], off offset:80
	global_store_dwordx4 v[64:65], v[4:7], off offset:96
	global_store_dwordx4 v[64:65], v[0:3], off offset:112
	s_waitcnt vmcnt(44)
	global_store_dwordx4 v[64:65], v[28:31], off offset:128
	s_waitcnt vmcnt(41)
	global_store_dwordx4 v[64:65], v[12:15], off offset:144
	;; [unrolled: 2-line block ×8, first 2 shown]
	s_endpgm
	.section	.rodata,"a",@progbits
	.p2align	6, 0x0
	.amdhsa_kernel _Z20warp_exchange_kernelILj256ELj16ELj16EN6common25StripedToBlockedShuffleOpEnEvPT3_j
		.amdhsa_group_segment_fixed_size 0
		.amdhsa_private_segment_fixed_size 272
		.amdhsa_kernarg_size 12
		.amdhsa_user_sgpr_count 8
		.amdhsa_user_sgpr_private_segment_buffer 1
		.amdhsa_user_sgpr_dispatch_ptr 0
		.amdhsa_user_sgpr_queue_ptr 0
		.amdhsa_user_sgpr_kernarg_segment_ptr 1
		.amdhsa_user_sgpr_dispatch_id 0
		.amdhsa_user_sgpr_flat_scratch_init 1
		.amdhsa_user_sgpr_kernarg_preload_length 0
		.amdhsa_user_sgpr_kernarg_preload_offset 0
		.amdhsa_user_sgpr_private_segment_size 0
		.amdhsa_uses_dynamic_stack 0
		.amdhsa_system_sgpr_private_segment_wavefront_offset 1
		.amdhsa_system_sgpr_workgroup_id_x 1
		.amdhsa_system_sgpr_workgroup_id_y 0
		.amdhsa_system_sgpr_workgroup_id_z 0
		.amdhsa_system_sgpr_workgroup_info 0
		.amdhsa_system_vgpr_workitem_id 0
		.amdhsa_next_free_vgpr 98
		.amdhsa_next_free_sgpr 10
		.amdhsa_accum_offset 100
		.amdhsa_reserve_vcc 1
		.amdhsa_reserve_flat_scratch 0
		.amdhsa_float_round_mode_32 0
		.amdhsa_float_round_mode_16_64 0
		.amdhsa_float_denorm_mode_32 3
		.amdhsa_float_denorm_mode_16_64 3
		.amdhsa_dx10_clamp 1
		.amdhsa_ieee_mode 1
		.amdhsa_fp16_overflow 0
		.amdhsa_tg_split 0
		.amdhsa_exception_fp_ieee_invalid_op 0
		.amdhsa_exception_fp_denorm_src 0
		.amdhsa_exception_fp_ieee_div_zero 0
		.amdhsa_exception_fp_ieee_overflow 0
		.amdhsa_exception_fp_ieee_underflow 0
		.amdhsa_exception_fp_ieee_inexact 0
		.amdhsa_exception_int_div_zero 0
	.end_amdhsa_kernel
	.section	.text._Z20warp_exchange_kernelILj256ELj16ELj16EN6common25StripedToBlockedShuffleOpEnEvPT3_j,"axG",@progbits,_Z20warp_exchange_kernelILj256ELj16ELj16EN6common25StripedToBlockedShuffleOpEnEvPT3_j,comdat
.Lfunc_end56:
	.size	_Z20warp_exchange_kernelILj256ELj16ELj16EN6common25StripedToBlockedShuffleOpEnEvPT3_j, .Lfunc_end56-_Z20warp_exchange_kernelILj256ELj16ELj16EN6common25StripedToBlockedShuffleOpEnEvPT3_j
                                        ; -- End function
	.section	.AMDGPU.csdata,"",@progbits
; Kernel info:
; codeLenInByte = 6228
; NumSgprs: 14
; NumVgprs: 98
; NumAgprs: 0
; TotalNumVgprs: 98
; ScratchSize: 272
; MemoryBound: 0
; FloatMode: 240
; IeeeMode: 1
; LDSByteSize: 0 bytes/workgroup (compile time only)
; SGPRBlocks: 1
; VGPRBlocks: 12
; NumSGPRsForWavesPerEU: 14
; NumVGPRsForWavesPerEU: 98
; AccumOffset: 100
; Occupancy: 4
; WaveLimiterHint : 0
; COMPUTE_PGM_RSRC2:SCRATCH_EN: 1
; COMPUTE_PGM_RSRC2:USER_SGPR: 8
; COMPUTE_PGM_RSRC2:TRAP_HANDLER: 0
; COMPUTE_PGM_RSRC2:TGID_X_EN: 1
; COMPUTE_PGM_RSRC2:TGID_Y_EN: 0
; COMPUTE_PGM_RSRC2:TGID_Z_EN: 0
; COMPUTE_PGM_RSRC2:TIDIG_COMP_CNT: 0
; COMPUTE_PGM_RSRC3_GFX90A:ACCUM_OFFSET: 24
; COMPUTE_PGM_RSRC3_GFX90A:TG_SPLIT: 0
	.section	.text._Z20warp_exchange_kernelILj256ELj16ELj32EN6common25StripedToBlockedShuffleOpEnEvPT3_j,"axG",@progbits,_Z20warp_exchange_kernelILj256ELj16ELj32EN6common25StripedToBlockedShuffleOpEnEvPT3_j,comdat
	.protected	_Z20warp_exchange_kernelILj256ELj16ELj32EN6common25StripedToBlockedShuffleOpEnEvPT3_j ; -- Begin function _Z20warp_exchange_kernelILj256ELj16ELj32EN6common25StripedToBlockedShuffleOpEnEvPT3_j
	.globl	_Z20warp_exchange_kernelILj256ELj16ELj32EN6common25StripedToBlockedShuffleOpEnEvPT3_j
	.p2align	8
	.type	_Z20warp_exchange_kernelILj256ELj16ELj32EN6common25StripedToBlockedShuffleOpEnEvPT3_j,@function
_Z20warp_exchange_kernelILj256ELj16ELj32EN6common25StripedToBlockedShuffleOpEnEvPT3_j: ; @_Z20warp_exchange_kernelILj256ELj16ELj32EN6common25StripedToBlockedShuffleOpEnEvPT3_j
; %bb.0:
	s_load_dword s6, s[4:5], 0x8
	s_add_u32 s0, s0, s9
	s_addc_u32 s1, s1, 0
	v_lshlrev_b32_e32 v64, 4, v0
	v_or_b32_e32 v28, 1, v64
	v_or_b32_e32 v56, 2, v64
	;; [unrolled: 1-line block ×14, first 2 shown]
	s_waitcnt lgkmcnt(0)
	s_cmp_eq_u32 s6, 0
	v_or_b32_e32 v0, 15, v64
	s_cbranch_scc1 .LBB57_3
; %bb.1:
	v_mbcnt_lo_u32_b32 v5, -1, 0
	v_mbcnt_hi_u32_b32 v5, -1, v5
	v_and_b32_e32 v6, 0x60, v5
	v_add_u32_e32 v7, 28, v5
	v_and_or_b32 v7, v7, 31, v6
	v_lshlrev_b32_e32 v66, 2, v7
	v_add_u32_e32 v7, 24, v5
	v_and_or_b32 v7, v7, 31, v6
	v_lshlrev_b32_e32 v67, 2, v7
	;; [unrolled: 3-line block ×3, first 2 shown]
	v_lshlrev_b32_e32 v7, 2, v5
	v_xor_b32_e32 v69, 64, v7
	v_add_u32_e32 v7, 12, v5
	v_and_or_b32 v7, v7, 31, v6
	v_lshlrev_b32_e32 v70, 2, v7
	v_add_u32_e32 v7, 8, v5
	v_and_or_b32 v7, v7, 31, v6
	v_lshlrev_b32_e32 v71, 2, v7
	;; [unrolled: 3-line block ×3, first 2 shown]
	v_bfe_u32 v6, v5, 2, 3
	v_add_u32_e32 v10, 7, v6
	v_mov_b32_e32 v7, 0
	v_and_b32_e32 v11, 7, v10
	v_lshl_add_u32 v74, v11, 4, v7
	v_mov_b32_e32 v11, 0x80
	v_lshl_or_b32 v10, v10, 4, v11
	v_add_u32_e32 v75, 0, v10
	v_add_u32_e32 v10, 6, v6
	v_and_b32_e32 v14, 7, v10
	v_lshl_or_b32 v10, v10, 4, v11
	v_add_u32_e32 v77, 0, v10
	v_add_u32_e32 v10, 5, v6
	v_lshl_add_u32 v73, v6, 4, v7
	v_lshl_add_u32 v76, v14, 4, v7
	v_and_b32_e32 v14, 7, v10
	v_lshl_or_b32 v10, v10, 4, v11
	v_xor_b32_e32 v6, 4, v6
	v_add_u32_e32 v79, 0, v10
	v_add_u32_e32 v10, 7, v6
	v_lshl_add_u32 v78, v14, 4, v7
	v_and_b32_e32 v14, 7, v10
	v_lshl_or_b32 v10, v10, 4, v11
	v_add_u32_e32 v82, 0, v10
	v_add_u32_e32 v10, 6, v6
	v_lshl_add_u32 v80, v6, 4, v7
	v_lshl_add_u32 v81, v14, 4, v7
	v_and_b32_e32 v14, 7, v10
	v_lshl_or_b32 v10, v10, 4, v11
	v_add_u32_e32 v6, 5, v6
	v_add_u32_e32 v84, 0, v10
	v_and_b32_e32 v10, 7, v6
	v_lshl_or_b32 v6, v6, 4, v11
	v_add_u32_e32 v86, 0, v6
	v_and_b32_e32 v6, 3, v5
	v_add_u32_e32 v5, -1, v5
	v_lshl_add_u32 v83, v14, 4, v7
	v_lshl_add_u32 v85, v10, 4, v7
	v_mov_b32_e32 v7, 0x100
	v_and_b32_e32 v5, 3, v5
	v_lshl_add_u32 v88, v5, 4, v7
	v_xor_b32_e32 v5, 2, v6
	v_lshl_add_u32 v89, v5, 4, v7
	v_add_u32_e32 v5, 3, v5
	v_mov_b32_e32 v1, 0
	v_lshl_add_u32 v87, v6, 4, v7
	v_and_b32_e32 v6, 3, v5
	v_lshlrev_b32_e32 v5, 4, v5
	v_mov_b32_e32 v65, v1
	v_lshl_add_u32 v90, v6, 4, v7
	v_or_b32_e32 v6, 64, v5
	v_or_b32_e32 v5, 0xc0, v5
	v_pk_mov_b32 v[2:3], 0, 0
	v_mov_b32_e32 v13, v1
	v_mov_b32_e32 v17, v1
	;; [unrolled: 1-line block ×8, first 2 shown]
	v_add_u32_e32 v91, 0x100, v6
	v_add_u32_e32 v92, 0x100, v5
	v_pk_mov_b32 v[14:15], 0, 0
	v_pk_mov_b32 v[18:19], 0, 0
	;; [unrolled: 1-line block ×8, first 2 shown]
	v_mov_b32_e32 v45, v1
	v_pk_mov_b32 v[46:47], 0, 0
	v_mov_b32_e32 v49, v1
	v_pk_mov_b32 v[50:51], 0, 0
	v_mov_b32_e32 v5, v1
	v_pk_mov_b32 v[6:7], 0, 0
	v_mov_b32_e32 v53, v1
	v_pk_mov_b32 v[54:55], 0, 0
	v_mov_b32_e32 v57, v1
	v_pk_mov_b32 v[58:59], 0, 0
	v_mov_b32_e32 v29, v1
	v_pk_mov_b32 v[30:31], 0, 0
	v_pk_mov_b32 v[62:63], 0, 0
	v_pk_mov_b32 v[60:61], v[64:65], v[64:65] op_sel:[0,1]
.LBB57_2:                               ; =>This Inner Loop Header: Depth=1
	buffer_store_dword v57, off, s[0:3], 0 offset:36
	buffer_store_dword v56, off, s[0:3], 0 offset:32
	;; [unrolled: 1-line block ×8, first 2 shown]
	s_waitcnt vmcnt(14)
	buffer_store_dword v5, off, s[0:3], 0 offset:68
	buffer_store_dword v4, off, s[0:3], 0 offset:64
	;; [unrolled: 1-line block ×32, first 2 shown]
	s_waitcnt vmcnt(40)
	buffer_store_dword v21, off, s[0:3], 0 offset:196
	buffer_store_dword v20, off, s[0:3], 0 offset:192
	;; [unrolled: 1-line block ×12, first 2 shown]
	ds_bpermute_b32 v12, v72, v12
	ds_bpermute_b32 v56, v66, v56
	;; [unrolled: 1-line block ×52, first 2 shown]
	buffer_store_dword v1, off, s[0:3], 0 offset:244
	buffer_store_dword v0, off, s[0:3], 0 offset:240
	;; [unrolled: 1-line block ×4, first 2 shown]
	ds_bpermute_b32 v3, v72, v3
	buffer_store_dword v61, off, s[0:3], 0 offset:4
	buffer_store_dword v60, off, s[0:3], 0
	buffer_store_dword v63, off, s[0:3], 0 offset:12
	buffer_store_dword v62, off, s[0:3], 0 offset:8
	;; [unrolled: 1-line block ×6, first 2 shown]
	buffer_store_dword v61, v73, s[0:3], 0 offen offset:4
	buffer_store_dword v63, v73, s[0:3], 0 offen offset:12
	;; [unrolled: 1-line block ×3, first 2 shown]
	buffer_store_dword v60, v73, s[0:3], 0 offen
	buffer_store_dword v31, v73, s[0:3], 0 offen offset:140
	buffer_store_dword v29, v73, s[0:3], 0 offen offset:132
	;; [unrolled: 1-line block ×4, first 2 shown]
	s_waitcnt lgkmcnt(14)
	buffer_store_dword v57, v74, s[0:3], 0 offen offset:4
	buffer_store_dword v59, v74, s[0:3], 0 offen offset:12
	buffer_store_dword v58, v74, s[0:3], 0 offen offset:8
	buffer_store_dword v56, v74, s[0:3], 0 offen
	buffer_store_dword v55, v75, s[0:3], 0 offen offset:12
	buffer_store_dword v53, v75, s[0:3], 0 offen offset:4
	buffer_store_dword v54, v75, s[0:3], 0 offen offset:8
	buffer_store_dword v52, v75, s[0:3], 0 offen
	;; [unrolled: 4-line block ×7, first 2 shown]
	buffer_store_dword v39, v80, s[0:3], 0 offen offset:140
	buffer_store_dword v37, v80, s[0:3], 0 offen offset:132
	;; [unrolled: 1-line block ×7, first 2 shown]
	buffer_store_dword v32, v81, s[0:3], 0 offen
	s_waitcnt lgkmcnt(8)
	buffer_store_dword v23, v83, s[0:3], 0 offen offset:12
	buffer_store_dword v22, v83, s[0:3], 0 offen offset:8
	;; [unrolled: 1-line block ×3, first 2 shown]
	buffer_store_dword v20, v83, s[0:3], 0 offen
	s_waitcnt lgkmcnt(1)
	buffer_store_dword v15, v85, s[0:3], 0 offen offset:12
	buffer_store_dword v14, v85, s[0:3], 0 offen offset:8
	;; [unrolled: 1-line block ×6, first 2 shown]
	buffer_store_dword v24, v82, s[0:3], 0 offen
	buffer_store_dword v19, v84, s[0:3], 0 offen offset:12
	buffer_store_dword v18, v84, s[0:3], 0 offen offset:8
	;; [unrolled: 1-line block ×3, first 2 shown]
	buffer_store_dword v16, v84, s[0:3], 0 offen
	s_waitcnt lgkmcnt(0)
	buffer_store_dword v3, v86, s[0:3], 0 offen offset:12
	buffer_load_dword v8, off, s[0:3], 0 offset:236
	ds_bpermute_b32 v2, v72, v2
	buffer_store_dword v12, v85, s[0:3], 0 offen
	buffer_load_dword v5, off, s[0:3], 0 offset:80
	buffer_load_dword v7, off, s[0:3], 0 offset:88
	;; [unrolled: 1-line block ×3, first 2 shown]
	ds_bpermute_b32 v1, v72, v1
	buffer_load_dword v4, off, s[0:3], 0 offset:92
	s_waitcnt lgkmcnt(1)
	buffer_store_dword v2, v86, s[0:3], 0 offen offset:8
	s_waitcnt lgkmcnt(0)
	buffer_store_dword v1, v86, s[0:3], 0 offen offset:4
	buffer_load_dword v1, off, s[0:3], 0 offset:152
	s_nop 0
	buffer_load_dword v2, off, s[0:3], 0 offset:156
	ds_bpermute_b32 v0, v72, v0
	s_add_i32 s6, s6, -1
	s_cmp_lg_u32 s6, 0
	s_waitcnt lgkmcnt(0)
	buffer_store_dword v0, v86, s[0:3], 0 offen
	buffer_load_dword v0, off, s[0:3], 0 offset:144
	s_nop 0
	buffer_load_dword v9, off, s[0:3], 0 offset:160
	buffer_load_dword v10, off, s[0:3], 0 offset:148
	;; [unrolled: 1-line block ×11, first 2 shown]
	s_waitcnt vmcnt(22)
	ds_bpermute_b32 v8, v67, v8
	s_waitcnt vmcnt(20)
	ds_bpermute_b32 v5, v68, v5
	s_waitcnt vmcnt(19)
	ds_bpermute_b32 v7, v68, v7
	s_waitcnt vmcnt(18)
	ds_bpermute_b32 v6, v68, v6
	s_waitcnt lgkmcnt(3)
	buffer_store_dword v8, off, s[0:3], 0 offset:236
	buffer_load_dword v8, off, s[0:3], 0 offset:236
	s_nop 0
	buffer_load_dword v19, off, s[0:3], 0 offset:208
	s_waitcnt lgkmcnt(1)
	buffer_store_dword v7, off, s[0:3], 0 offset:88
	s_waitcnt lgkmcnt(0)
	buffer_store_dword v6, off, s[0:3], 0 offset:84
	buffer_store_dword v5, off, s[0:3], 0 offset:80
	s_waitcnt vmcnt(23)
	ds_bpermute_b32 v4, v68, v4
	buffer_load_dword v6, off, s[0:3], 0 offset:80
	buffer_load_dword v20, off, s[0:3], 0 offset:84
	;; [unrolled: 1-line block ×13, first 2 shown]
	s_waitcnt vmcnt(32)
	ds_bpermute_b32 v2, v72, v2
	ds_bpermute_b32 v1, v72, v1
	s_waitcnt vmcnt(27)
	ds_bpermute_b32 v7, v69, v11
	s_waitcnt lgkmcnt(3)
	buffer_store_dword v4, off, s[0:3], 0 offset:92
	ds_bpermute_b32 v4, v72, v10
	s_waitcnt vmcnt(27)
	ds_bpermute_b32 v11, v68, v12
	ds_bpermute_b32 v0, v72, v0
	s_waitcnt vmcnt(26)
	ds_bpermute_b32 v12, v67, v13
	buffer_load_dword v31, off, s[0:3], 0 offset:140
	buffer_load_dword v10, off, s[0:3], 0 offset:200
	s_waitcnt lgkmcnt(6)
	buffer_store_dword v2, off, s[0:3], 0 offset:156
	s_waitcnt lgkmcnt(5)
	buffer_store_dword v1, off, s[0:3], 0 offset:152
	;; [unrolled: 2-line block ×5, first 2 shown]
	s_waitcnt vmcnt(32)
	ds_bpermute_b32 v1, v68, v14
	s_waitcnt vmcnt(31)
	ds_bpermute_b32 v2, v66, v15
	buffer_load_dword v12, off, s[0:3], 0 offset:216
	buffer_load_dword v13, off, s[0:3], 0 offset:228
	;; [unrolled: 1-line block ×4, first 2 shown]
	s_nop 0
	buffer_store_dword v4, off, s[0:3], 0 offset:148
	buffer_store_dword v0, off, s[0:3], 0 offset:144
	s_waitcnt vmcnt(36)
	ds_bpermute_b32 v0, v68, v16
	buffer_load_dword v4, off, s[0:3], 0 offset:92
	s_waitcnt lgkmcnt(2)
	buffer_store_dword v1, off, s[0:3], 0 offset:212
	s_waitcnt lgkmcnt(1)
	buffer_store_dword v2, off, s[0:3], 0 offset:248
	buffer_load_dword v7, off, s[0:3], 0 offset:248
	buffer_load_dword v14, off, s[0:3], 0 offset:212
	;; [unrolled: 1-line block ×6, first 2 shown]
	s_waitcnt vmcnt(44)
	ds_bpermute_b32 v17, v71, v17
	s_waitcnt lgkmcnt(1)
	buffer_store_dword v0, off, s[0:3], 0 offset:220
	buffer_load_dword v16, off, s[0:3], 0 offset:220
	buffer_load_dword v37, off, s[0:3], 0 offset:172
	;; [unrolled: 1-line block ×4, first 2 shown]
	ds_bpermute_b32 v9, v71, v9
	s_waitcnt vmcnt(47)
	ds_bpermute_b32 v18, v69, v18
	ds_bpermute_b32 v3, v67, v3
	s_waitcnt vmcnt(40)
	v_mov_b32_dpp v6, v6 quad_perm:[3,0,1,2] row_mask:0xf bank_mask:0xf
	s_waitcnt vmcnt(33)
	ds_bpermute_b32 v1, v72, v5
	s_waitcnt vmcnt(32)
	ds_bpermute_b32 v2, v72, v26
	;; [unrolled: 2-line block ×4, first 2 shown]
	ds_bpermute_b32 v0, v68, v19
	v_mov_b32_dpp v19, v20 quad_perm:[3,0,1,2] row_mask:0xf bank_mask:0xf
	ds_bpermute_b32 v20, v67, v24
	s_waitcnt lgkmcnt(3)
	buffer_store_dword v26, off, s[0:3], 0 offset:232
	s_waitcnt lgkmcnt(2)
	buffer_store_dword v27, off, s[0:3], 0 offset:244
	v_mov_b32_dpp v24, v25 quad_perm:[3,0,1,2] row_mask:0xf bank_mask:0xf
	ds_bpermute_b32 v23, v67, v23
	buffer_load_dword v25, off, s[0:3], 0 offset:128
	buffer_load_dword v26, off, s[0:3], 0 offset:132
	s_waitcnt vmcnt(33)
	ds_bpermute_b32 v5, v72, v29
	s_waitcnt lgkmcnt(2)
	buffer_store_dword v20, off, s[0:3], 0 offset:100
	ds_bpermute_b32 v20, v66, v21
	ds_bpermute_b32 v21, v66, v22
	s_waitcnt lgkmcnt(3)
	buffer_store_dword v23, off, s[0:3], 0 offset:108
	s_waitcnt vmcnt(34)
	ds_bpermute_b32 v11, v72, v30
	v_mov_b32_dpp v30, v0 quad_perm:[1,2,3,0] row_mask:0xf bank_mask:0xf
	s_waitcnt lgkmcnt(2)
	buffer_store_dword v20, off, s[0:3], 0 offset:116
	buffer_load_dword v20, off, s[0:3], 0 offset:100
	s_nop 0
	buffer_load_dword v22, off, s[0:3], 0 offset:108
	buffer_load_dword v23, off, s[0:3], 0 offset:116
	s_waitcnt vmcnt(19)
	v_mov_b32_dpp v14, v14 quad_perm:[1,2,3,0] row_mask:0xf bank_mask:0xf
	s_waitcnt lgkmcnt(1)
	buffer_store_dword v21, off, s[0:3], 0 offset:120
	buffer_load_dword v21, off, s[0:3], 0 offset:120
	s_nop 0
	buffer_store_dword v17, off, s[0:3], 0 offset:164
	buffer_store_dword v9, off, s[0:3], 0 offset:160
	v_mov_b32_dpp v4, v4 quad_perm:[3,0,1,2] row_mask:0xf bank_mask:0xf
	buffer_load_dword v9, off, s[0:3], 0 offset:160
	buffer_load_dword v17, off, s[0:3], 0 offset:164
	s_waitcnt vmcnt(24)
	v_mov_b32_dpp v15, v15 quad_perm:[2,3,0,1] row_mask:0xf bank_mask:0xf
	s_waitcnt vmcnt(23)
	v_mov_b32_dpp v27, v34 quad_perm:[2,3,0,1] row_mask:0xf bank_mask:0xf
	s_waitcnt vmcnt(22)
	v_mov_b32_dpp v28, v35 quad_perm:[2,3,0,1] row_mask:0xf bank_mask:0xf
	s_waitcnt vmcnt(21)
	v_mov_b32_dpp v29, v36 quad_perm:[2,3,0,1] row_mask:0xf bank_mask:0xf
	v_mov_b32_dpp v12, v12 quad_perm:[1,2,3,0] row_mask:0xf bank_mask:0xf
	buffer_load_dword v34, off, s[0:3], 0 offset:232
	buffer_load_dword v35, off, s[0:3], 0 offset:244
	;; [unrolled: 1-line block ×3, first 2 shown]
	s_waitcnt vmcnt(22)
	v_mov_b32_dpp v16, v16 quad_perm:[1,2,3,0] row_mask:0xf bank_mask:0xf
	buffer_store_dword v1, v87, s[0:3], 0 offen offset:64
	buffer_store_dword v2, v87, s[0:3], 0 offen offset:68
	;; [unrolled: 1-line block ×3, first 2 shown]
	s_waitcnt lgkmcnt(0)
	buffer_store_dword v11, v87, s[0:3], 0 offen offset:76
	buffer_store_dword v6, v88, s[0:3], 0 offen offset:64
	buffer_store_dword v19, v88, s[0:3], 0 offen offset:68
	buffer_store_dword v24, v88, s[0:3], 0 offen offset:72
	buffer_store_dword v4, v88, s[0:3], 0 offen offset:76
	buffer_store_dword v15, v89, s[0:3], 0 offen offset:64
	buffer_store_dword v27, v89, s[0:3], 0 offen offset:68
	buffer_store_dword v28, v89, s[0:3], 0 offen offset:72
	buffer_store_dword v29, v89, s[0:3], 0 offen offset:76
	buffer_store_dword v30, v91, s[0:3], 0 offen
	buffer_store_dword v14, v91, s[0:3], 0 offen offset:4
	buffer_store_dword v12, v91, s[0:3], 0 offen offset:8
	;; [unrolled: 1-line block ×3, first 2 shown]
	buffer_load_dword v6, off, s[0:3], 0 offset:328
	s_nop 0
	buffer_load_dword v12, off, s[0:3], 0 offset:68
	buffer_load_dword v14, off, s[0:3], 0 offset:64
	;; [unrolled: 1-line block ×10, first 2 shown]
	s_waitcnt vmcnt(47)
	ds_bpermute_b32 v38, v69, v38
	ds_bpermute_b32 v10, v69, v10
	buffer_load_dword v40, off, s[0:3], 0 offset:180
	buffer_load_dword v41, off, s[0:3], 0 offset:184
	;; [unrolled: 1-line block ×4, first 2 shown]
	v_mov_b32_dpp v31, v31 quad_perm:[2,3,0,1] row_mask:0xf bank_mask:0xf
	buffer_store_dword v18, off, s[0:3], 0 offset:76
	s_waitcnt lgkmcnt(1)
	buffer_store_dword v38, off, s[0:3], 0 offset:72
	buffer_load_dword v38, off, s[0:3], 0 offset:72
	v_mov_b32_dpp v33, v33 quad_perm:[1,2,3,0] row_mask:0xf bank_mask:0xf
	v_mov_b32_dpp v8, v8 quad_perm:[1,2,3,0] row_mask:0xf bank_mask:0xf
	;; [unrolled: 1-line block ×3, first 2 shown]
	s_waitcnt vmcnt(50)
	v_mov_b32_dpp v25, v25 quad_perm:[2,3,0,1] row_mask:0xf bank_mask:0xf
	s_waitcnt vmcnt(49)
	v_mov_b32_dpp v26, v26 quad_perm:[2,3,0,1] row_mask:0xf bank_mask:0xf
	;; [unrolled: 2-line block ×6, first 2 shown]
	s_waitcnt vmcnt(16)
	ds_bpermute_b32 v12, v69, v12
	s_waitcnt vmcnt(15)
	ds_bpermute_b32 v14, v69, v14
	;; [unrolled: 2-line block ×6, first 2 shown]
	s_waitcnt lgkmcnt(5)
	buffer_store_dword v12, off, s[0:3], 0 offset:68
	buffer_load_dword v12, off, s[0:3], 0 offset:68
	s_waitcnt vmcnt(11)
	ds_bpermute_b32 v28, v66, v28
	s_waitcnt lgkmcnt(5)
	buffer_store_dword v14, off, s[0:3], 0 offset:64
	buffer_load_dword v14, off, s[0:3], 0 offset:64
	s_nop 0
	buffer_load_dword v18, off, s[0:3], 0 offset:76
	buffer_load_dword v43, off, s[0:3], 0 offset:136
	s_waitcnt vmcnt(13)
	ds_bpermute_b32 v30, v66, v30
	s_waitcnt lgkmcnt(5)
	buffer_store_dword v15, off, s[0:3], 0 offset:196
	s_waitcnt lgkmcnt(4)
	buffer_store_dword v16, off, s[0:3], 0 offset:192
	buffer_store_dword v10, off, s[0:3], 0 offset:200
	buffer_load_dword v15, off, s[0:3], 0 offset:196
	s_waitcnt vmcnt(15)
	ds_bpermute_b32 v41, v70, v41
	buffer_load_dword v16, off, s[0:3], 0 offset:192
	buffer_load_dword v10, off, s[0:3], 0 offset:200
	buffer_load_dword v44, off, s[0:3], 0
	buffer_load_dword v45, off, s[0:3], 0 offset:4
	buffer_load_dword v46, off, s[0:3], 0 offset:8
	;; [unrolled: 1-line block ×13, first 2 shown]
	s_waitcnt vmcnt(30)
	ds_bpermute_b32 v42, v70, v42
	s_waitcnt lgkmcnt(4)
	buffer_store_dword v24, off, s[0:3], 0 offset:96
	ds_bpermute_b32 v24, v71, v27
	ds_bpermute_b32 v27, v71, v37
	buffer_store_dword v19, off, s[0:3], 0 offset:104
	buffer_load_dword v37, off, s[0:3], 0 offset:96
	ds_bpermute_b32 v40, v70, v40
	buffer_load_dword v19, off, s[0:3], 0 offset:104
	s_waitcnt lgkmcnt(1)
	buffer_store_dword v27, off, s[0:3], 0 offset:172
	buffer_store_dword v24, off, s[0:3], 0 offset:168
	buffer_load_dword v24, off, s[0:3], 0 offset:168
	s_nop 0
	buffer_load_dword v27, off, s[0:3], 0 offset:172
	v_mov_b32_dpp v17, v17 quad_perm:[2,3,0,1] row_mask:0xf bank_mask:0xf
	buffer_store_dword v28, off, s[0:3], 0 offset:112
	ds_bpermute_b32 v28, v70, v29
	buffer_load_dword v62, off, s[0:3], 0 offset:376
	buffer_load_dword v65, off, s[0:3], 0 offset:372
	buffer_load_dword v29, off, s[0:3], 0 offset:112
	buffer_load_dword v93, off, s[0:3], 0 offset:336
	s_waitcnt vmcnt(37)
	v_mov_b32_dpp v12, v12 quad_perm:[3,0,1,2] row_mask:0xf bank_mask:0xf
	s_waitcnt lgkmcnt(0)
	buffer_store_dword v28, off, s[0:3], 0 offset:176
	buffer_load_dword v28, off, s[0:3], 0 offset:176
	s_nop 0
	buffer_store_dword v30, off, s[0:3], 0 offset:124
	buffer_store_dword v42, off, s[0:3], 0 offset:188
	;; [unrolled: 1-line block ×4, first 2 shown]
	ds_bpermute_b32 v30, v66, v36
	s_waitcnt vmcnt(40)
	v_mov_b32_dpp v18, v18 quad_perm:[3,0,1,2] row_mask:0xf bank_mask:0xf
	v_mov_b32_dpp v14, v14 quad_perm:[3,0,1,2] row_mask:0xf bank_mask:0xf
	v_mov_b32_dpp v36, v38 quad_perm:[3,0,1,2] row_mask:0xf bank_mask:0xf
	buffer_load_dword v38, off, s[0:3], 0 offset:380
	buffer_load_dword v40, off, s[0:3], 0 offset:124
	s_waitcnt vmcnt(41)
	v_mov_b32_dpp v41, v43 quad_perm:[2,3,0,1] row_mask:0xf bank_mask:0xf
	buffer_load_dword v42, off, s[0:3], 0 offset:180
	buffer_load_dword v43, off, s[0:3], 0 offset:184
	;; [unrolled: 1-line block ×3, first 2 shown]
	s_waitcnt vmcnt(39)
	v_mov_b32_dpp v16, v16 quad_perm:[1,2,3,0] row_mask:0xf bank_mask:0xf
	v_mov_b32_dpp v15, v15 quad_perm:[1,2,3,0] row_mask:0xf bank_mask:0xf
	s_waitcnt vmcnt(38)
	v_mov_b32_dpp v10, v10 quad_perm:[1,2,3,0] row_mask:0xf bank_mask:0xf
	s_waitcnt vmcnt(37)
	buffer_store_dword v44, v87, s[0:3], 0 offen
	s_waitcnt vmcnt(37)
	buffer_store_dword v45, v87, s[0:3], 0 offen offset:4
	s_waitcnt vmcnt(37)
	buffer_store_dword v46, v87, s[0:3], 0 offen offset:8
	buffer_store_dword v39, v87, s[0:3], 0 offen offset:12
	buffer_store_dword v14, v88, s[0:3], 0 offen
	buffer_store_dword v12, v88, s[0:3], 0 offen offset:4
	buffer_store_dword v36, v88, s[0:3], 0 offen offset:8
	buffer_store_dword v18, v88, s[0:3], 0 offen offset:12
	buffer_store_dword v25, v89, s[0:3], 0 offen
	buffer_store_dword v26, v89, s[0:3], 0 offen offset:4
	;; [unrolled: 4-line block ×3, first 2 shown]
	buffer_store_dword v10, v90, s[0:3], 0 offen offset:8
	buffer_store_dword v33, v90, s[0:3], 0 offen offset:12
	s_waitcnt vmcnt(50)
	ds_bpermute_b32 v18, v71, v47
	s_waitcnt vmcnt(49)
	ds_bpermute_b32 v25, v71, v48
	;; [unrolled: 2-line block ×4, first 2 shown]
	buffer_load_dword v12, off, s[0:3], 0 offset:300
	buffer_load_dword v14, off, s[0:3], 0 offset:296
	;; [unrolled: 1-line block ×4, first 2 shown]
	s_waitcnt vmcnt(41)
	v_mov_b32_dpp v10, v37 quad_perm:[3,0,1,2] row_mask:0xf bank_mask:0xf
	s_waitcnt lgkmcnt(4)
	buffer_store_dword v30, off, s[0:3], 0 offset:252
	buffer_load_dword v30, off, s[0:3], 0 offset:252
	s_nop 0
	buffer_load_dword v33, off, s[0:3], 0 offset:316
	buffer_load_dword v36, off, s[0:3], 0 offset:312
	;; [unrolled: 1-line block ×7, first 2 shown]
	s_waitcnt vmcnt(49)
	v_mov_b32_dpp v19, v19 quad_perm:[3,0,1,2] row_mask:0xf bank_mask:0xf
	s_waitcnt vmcnt(46)
	v_mov_b32_dpp v24, v24 quad_perm:[2,3,0,1] row_mask:0xf bank_mask:0xf
	;; [unrolled: 2-line block ×3, first 2 shown]
	s_waitcnt lgkmcnt(3)
	buffer_store_dword v18, v87, s[0:3], 0 offen offset:128
	s_waitcnt lgkmcnt(2)
	buffer_store_dword v25, v87, s[0:3], 0 offen offset:132
	s_waitcnt lgkmcnt(1)
	buffer_store_dword v26, v87, s[0:3], 0 offen offset:136
	s_waitcnt lgkmcnt(0)
	buffer_store_dword v31, v87, s[0:3], 0 offen offset:140
	buffer_store_dword v10, v88, s[0:3], 0 offen offset:128
	buffer_store_dword v20, v88, s[0:3], 0 offen offset:132
	;; [unrolled: 1-line block ×9, first 2 shown]
	v_mov_b32_dpp v8, v3 quad_perm:[1,2,3,0] row_mask:0xf bank_mask:0xf
	buffer_load_dword v17, off, s[0:3], 0 offset:444
	v_mov_b32_dpp v9, v13 quad_perm:[1,2,3,0] row_mask:0xf bank_mask:0xf
	v_mov_b32_dpp v10, v34 quad_perm:[1,2,3,0] row_mask:0xf bank_mask:0xf
	buffer_store_dword v8, v90, s[0:3], 0 offen offset:128
	buffer_store_dword v9, v90, s[0:3], 0 offen offset:132
	;; [unrolled: 1-line block ×3, first 2 shown]
	v_mov_b32_dpp v22, v23 quad_perm:[3,0,1,2] row_mask:0xf bank_mask:0xf
	buffer_load_dword v8, off, s[0:3], 0 offset:384
	buffer_load_dword v9, off, s[0:3], 0 offset:388
	;; [unrolled: 1-line block ×6, first 2 shown]
	ds_bpermute_b32 v19, v66, v32
	s_waitcnt vmcnt(62)
	v_mov_b32_dpp v20, v29 quad_perm:[3,0,1,2] row_mask:0xf bank_mask:0xf
	buffer_load_dword v29, off, s[0:3], 0 offset:272
	buffer_load_dword v32, off, s[0:3], 0 offset:276
	;; [unrolled: 1-line block ×6, first 2 shown]
	ds_bpermute_b32 v44, v70, v52
	ds_bpermute_b32 v45, v70, v53
	;; [unrolled: 1-line block ×4, first 2 shown]
	s_waitcnt lgkmcnt(3)
	buffer_store_dword v44, v87, s[0:3], 0 offen offset:192
	s_waitcnt lgkmcnt(2)
	buffer_store_dword v45, v87, s[0:3], 0 offen offset:196
	;; [unrolled: 2-line block ×3, first 2 shown]
	buffer_load_dword v49, off, s[0:3], 0 offset:340
	buffer_load_dword v99, off, s[0:3], 0 offset:348
	v_mov_b32_dpp v48, v19 quad_perm:[1,2,3,0] row_mask:0xf bank_mask:0xf
	buffer_store_dword v47, v87, s[0:3], 0 offen offset:204
	v_mov_b32_dpp v50, v51 quad_perm:[1,2,3,0] row_mask:0xf bank_mask:0xf
	s_waitcnt vmcnt(62)
	v_mov_b32_dpp v28, v28 quad_perm:[2,3,0,1] row_mask:0xf bank_mask:0xf
	v_mov_b32_dpp v13, v40 quad_perm:[3,0,1,2] row_mask:0xf bank_mask:0xf
	;; [unrolled: 1-line block ×4, first 2 shown]
	buffer_store_dword v20, v88, s[0:3], 0 offen offset:192
	buffer_store_dword v22, v88, s[0:3], 0 offen offset:196
	;; [unrolled: 1-line block ×6, first 2 shown]
	v_mov_b32_dpp v43, v56 quad_perm:[2,3,0,1] row_mask:0xf bank_mask:0xf
	buffer_load_dword v13, off, s[0:3], 0 offset:400
	buffer_load_dword v20, off, s[0:3], 0 offset:404
	;; [unrolled: 1-line block ×6, first 2 shown]
	v_mov_b32_dpp v28, v35 quad_perm:[1,2,3,0] row_mask:0xf bank_mask:0xf
	s_waitcnt vmcnt(59)
	v_mov_b32_dpp v59, v12 quad_perm:[2,3,0,1] row_mask:0xf bank_mask:0xf
	s_waitcnt vmcnt(58)
	;; [unrolled: 2-line block ×3, first 2 shown]
	v_mov_b32_dpp v30, v30 quad_perm:[1,2,3,0] row_mask:0xf bank_mask:0xf
	buffer_store_dword v42, v89, s[0:3], 0 offen offset:200
	buffer_store_dword v43, v89, s[0:3], 0 offen offset:204
	buffer_store_dword v48, v92, s[0:3], 0 offen
	buffer_store_dword v28, v92, s[0:3], 0 offen offset:4
	buffer_store_dword v7, v92, s[0:3], 0 offen offset:8
	;; [unrolled: 1-line block ×3, first 2 shown]
	buffer_load_dword v102, off, s[0:3], 0 offset:464
	buffer_load_dword v103, off, s[0:3], 0 offset:468
	;; [unrolled: 1-line block ×4, first 2 shown]
	v_mov_b32_dpp v57, v15 quad_perm:[2,3,0,1] row_mask:0xf bank_mask:0xf
	buffer_store_dword v11, off, s[0:3], 0 offset:28
	buffer_load_dword v106, off, s[0:3], 0 offset:480
	buffer_load_dword v107, off, s[0:3], 0 offset:484
	buffer_load_dword v108, off, s[0:3], 0 offset:488
	buffer_load_dword v7, off, s[0:3], 0 offset:332
	s_nop 0
	buffer_load_dword v11, off, s[0:3], 0 offset:396
	s_nop 0
	buffer_store_dword v5, off, s[0:3], 0 offset:24
	buffer_store_dword v2, off, s[0:3], 0 offset:20
	;; [unrolled: 1-line block ×14, first 2 shown]
	buffer_load_dword v63, off, s[0:3], 0 offset:268
	s_waitcnt vmcnt(62)
	v_mov_b32_dpp v55, v33 quad_perm:[3,0,1,2] row_mask:0xf bank_mask:0xf
	v_mov_b32_dpp v44, v61 quad_perm:[2,3,0,1] row_mask:0xf bank_mask:0xf
	;; [unrolled: 1-line block ×7, first 2 shown]
	s_waitcnt vmcnt(54)
	v_mov_b32_dpp v28, v29 quad_perm:[1,2,3,0] row_mask:0xf bank_mask:0xf
	s_waitcnt vmcnt(53)
	v_mov_b32_dpp v29, v32 quad_perm:[1,2,3,0] row_mask:0xf bank_mask:0xf
	s_waitcnt vmcnt(52)
	v_mov_b32_dpp v30, v34 quad_perm:[1,2,3,0] row_mask:0xf bank_mask:0xf
	v_mov_b32_dpp v34, v24 quad_perm:[2,3,0,1] row_mask:0xf bank_mask:0xf
	v_mov_b32_dpp v24, v23 quad_perm:[3,0,1,2] row_mask:0xf bank_mask:0xf
	buffer_load_dword v23, off, s[0:3], 0 offset:460
	buffer_load_dword v2, off, s[0:3], 0 offset:504
	;; [unrolled: 1-line block ×6, first 2 shown]
	s_waitcnt vmcnt(57)
	v_mov_b32_dpp v31, v37 quad_perm:[1,2,3,0] row_mask:0xf bank_mask:0xf
	v_mov_b32_dpp v53, v39 quad_perm:[3,0,1,2] row_mask:0xf bank_mask:0xf
	;; [unrolled: 1-line block ×4, first 2 shown]
	s_waitcnt vmcnt(51)
	v_mov_b32_dpp v49, v49 quad_perm:[1,2,3,0] row_mask:0xf bank_mask:0xf
	s_waitcnt vmcnt(50)
	v_mov_b32_dpp v51, v99 quad_perm:[1,2,3,0] row_mask:0xf bank_mask:0xf
	v_mov_b32_dpp v45, v96 quad_perm:[2,3,0,1] row_mask:0xf bank_mask:0xf
	;; [unrolled: 1-line block ×9, first 2 shown]
	s_waitcnt vmcnt(42)
	v_mov_b32_dpp v36, v13 quad_perm:[1,2,3,0] row_mask:0xf bank_mask:0xf
	s_waitcnt vmcnt(41)
	v_mov_b32_dpp v37, v20 quad_perm:[1,2,3,0] row_mask:0xf bank_mask:0xf
	;; [unrolled: 2-line block ×18, first 2 shown]
	buffer_load_dword v5, off, s[0:3], 0 offset:324
	buffer_load_dword v60, off, s[0:3], 0 offset:256
	;; [unrolled: 1-line block ×7, first 2 shown]
	; wave barrier
	s_cbranch_scc1 .LBB57_2
	s_branch .LBB57_4
.LBB57_3:
	v_mov_b32_e32 v65, 0
	v_pk_mov_b32 v[2:3], 0, 0
	v_pk_mov_b32 v[62:63], 0, 0
	v_mov_b32_e32 v29, v65
	v_mov_b32_e32 v57, v65
	;; [unrolled: 1-line block ×13, first 2 shown]
	v_pk_mov_b32 v[60:61], v[64:65], v[64:65] op_sel:[0,1]
	v_pk_mov_b32 v[30:31], 0, 0
	v_pk_mov_b32 v[58:59], 0, 0
	;; [unrolled: 1-line block ×12, first 2 shown]
	v_mov_b32_e32 v17, v65
	v_pk_mov_b32 v[18:19], 0, 0
	v_mov_b32_e32 v13, v65
	v_pk_mov_b32 v[14:15], 0, 0
.LBB57_4:
	s_load_dwordx2 s[4:5], s[4:5], 0x0
	v_lshl_or_b32 v64, s8, 12, v64
	v_mov_b32_e32 v65, 0
	v_lshlrev_b64 v[64:65], 4, v[64:65]
	s_waitcnt lgkmcnt(0)
	v_mov_b32_e32 v66, s5
	v_add_co_u32_e32 v64, vcc, s4, v64
	v_addc_co_u32_e32 v65, vcc, v66, v65, vcc
	s_waitcnt vmcnt(2)
	global_store_dwordx4 v[64:65], v[60:63], off
	global_store_dwordx4 v[64:65], v[28:31], off offset:16
	global_store_dwordx4 v[64:65], v[56:59], off offset:32
	;; [unrolled: 1-line block ×11, first 2 shown]
	s_waitcnt vmcnt(12)
	global_store_dwordx4 v[64:65], v[20:23], off offset:192
	global_store_dwordx4 v[64:65], v[16:19], off offset:208
	;; [unrolled: 1-line block ×4, first 2 shown]
	s_endpgm
	.section	.rodata,"a",@progbits
	.p2align	6, 0x0
	.amdhsa_kernel _Z20warp_exchange_kernelILj256ELj16ELj32EN6common25StripedToBlockedShuffleOpEnEvPT3_j
		.amdhsa_group_segment_fixed_size 0
		.amdhsa_private_segment_fixed_size 528
		.amdhsa_kernarg_size 12
		.amdhsa_user_sgpr_count 8
		.amdhsa_user_sgpr_private_segment_buffer 1
		.amdhsa_user_sgpr_dispatch_ptr 0
		.amdhsa_user_sgpr_queue_ptr 0
		.amdhsa_user_sgpr_kernarg_segment_ptr 1
		.amdhsa_user_sgpr_dispatch_id 0
		.amdhsa_user_sgpr_flat_scratch_init 1
		.amdhsa_user_sgpr_kernarg_preload_length 0
		.amdhsa_user_sgpr_kernarg_preload_offset 0
		.amdhsa_user_sgpr_private_segment_size 0
		.amdhsa_uses_dynamic_stack 0
		.amdhsa_system_sgpr_private_segment_wavefront_offset 1
		.amdhsa_system_sgpr_workgroup_id_x 1
		.amdhsa_system_sgpr_workgroup_id_y 0
		.amdhsa_system_sgpr_workgroup_id_z 0
		.amdhsa_system_sgpr_workgroup_info 0
		.amdhsa_system_vgpr_workitem_id 0
		.amdhsa_next_free_vgpr 109
		.amdhsa_next_free_sgpr 10
		.amdhsa_accum_offset 112
		.amdhsa_reserve_vcc 1
		.amdhsa_reserve_flat_scratch 0
		.amdhsa_float_round_mode_32 0
		.amdhsa_float_round_mode_16_64 0
		.amdhsa_float_denorm_mode_32 3
		.amdhsa_float_denorm_mode_16_64 3
		.amdhsa_dx10_clamp 1
		.amdhsa_ieee_mode 1
		.amdhsa_fp16_overflow 0
		.amdhsa_tg_split 0
		.amdhsa_exception_fp_ieee_invalid_op 0
		.amdhsa_exception_fp_denorm_src 0
		.amdhsa_exception_fp_ieee_div_zero 0
		.amdhsa_exception_fp_ieee_overflow 0
		.amdhsa_exception_fp_ieee_underflow 0
		.amdhsa_exception_fp_ieee_inexact 0
		.amdhsa_exception_int_div_zero 0
	.end_amdhsa_kernel
	.section	.text._Z20warp_exchange_kernelILj256ELj16ELj32EN6common25StripedToBlockedShuffleOpEnEvPT3_j,"axG",@progbits,_Z20warp_exchange_kernelILj256ELj16ELj32EN6common25StripedToBlockedShuffleOpEnEvPT3_j,comdat
.Lfunc_end57:
	.size	_Z20warp_exchange_kernelILj256ELj16ELj32EN6common25StripedToBlockedShuffleOpEnEvPT3_j, .Lfunc_end57-_Z20warp_exchange_kernelILj256ELj16ELj32EN6common25StripedToBlockedShuffleOpEnEvPT3_j
                                        ; -- End function
	.section	.AMDGPU.csdata,"",@progbits
; Kernel info:
; codeLenInByte = 6712
; NumSgprs: 14
; NumVgprs: 109
; NumAgprs: 0
; TotalNumVgprs: 109
; ScratchSize: 528
; MemoryBound: 0
; FloatMode: 240
; IeeeMode: 1
; LDSByteSize: 0 bytes/workgroup (compile time only)
; SGPRBlocks: 1
; VGPRBlocks: 13
; NumSGPRsForWavesPerEU: 14
; NumVGPRsForWavesPerEU: 109
; AccumOffset: 112
; Occupancy: 4
; WaveLimiterHint : 1
; COMPUTE_PGM_RSRC2:SCRATCH_EN: 1
; COMPUTE_PGM_RSRC2:USER_SGPR: 8
; COMPUTE_PGM_RSRC2:TRAP_HANDLER: 0
; COMPUTE_PGM_RSRC2:TGID_X_EN: 1
; COMPUTE_PGM_RSRC2:TGID_Y_EN: 0
; COMPUTE_PGM_RSRC2:TGID_Z_EN: 0
; COMPUTE_PGM_RSRC2:TIDIG_COMP_CNT: 0
; COMPUTE_PGM_RSRC3_GFX90A:ACCUM_OFFSET: 27
; COMPUTE_PGM_RSRC3_GFX90A:TG_SPLIT: 0
	.section	.text._Z20warp_exchange_kernelILj256ELj1ELj16E18ScatterToStripedOpnEvPT3_j,"axG",@progbits,_Z20warp_exchange_kernelILj256ELj1ELj16E18ScatterToStripedOpnEvPT3_j,comdat
	.protected	_Z20warp_exchange_kernelILj256ELj1ELj16E18ScatterToStripedOpnEvPT3_j ; -- Begin function _Z20warp_exchange_kernelILj256ELj1ELj16E18ScatterToStripedOpnEvPT3_j
	.globl	_Z20warp_exchange_kernelILj256ELj1ELj16E18ScatterToStripedOpnEvPT3_j
	.p2align	8
	.type	_Z20warp_exchange_kernelILj256ELj1ELj16E18ScatterToStripedOpnEvPT3_j,@function
_Z20warp_exchange_kernelILj256ELj1ELj16E18ScatterToStripedOpnEvPT3_j: ; @_Z20warp_exchange_kernelILj256ELj1ELj16E18ScatterToStripedOpnEvPT3_j
; %bb.0:
	s_load_dword s0, s[4:5], 0x8
	v_mov_b32_e32 v1, 0
	s_waitcnt lgkmcnt(0)
	s_cmp_eq_u32 s0, 0
	s_cbranch_scc1 .LBB58_3
; %bb.1:
	v_mbcnt_lo_u32_b32 v6, -1, 0
	v_not_b32_e32 v2, v0
	v_lshlrev_b32_e32 v3, 4, v0
	v_mbcnt_hi_u32_b32 v6, -1, v6
	v_and_b32_e32 v2, 15, v2
	v_and_b32_e32 v3, 0xf00, v3
	;; [unrolled: 1-line block ×3, first 2 shown]
	v_pk_mov_b32 v[4:5], 0, 0
	v_lshl_or_b32 v6, v2, 4, v3
	v_lshl_or_b32 v7, v7, 4, v3
	v_pk_mov_b32 v[2:3], v[0:1], v[0:1] op_sel:[0,1]
.LBB58_2:                               ; =>This Inner Loop Header: Depth=1
	s_waitcnt lgkmcnt(0)
	ds_write_b128 v6, v[2:5]
	; wave barrier
	ds_read_b128 v[2:5], v7
	s_add_i32 s0, s0, -1
	s_cmp_lg_u32 s0, 0
	; wave barrier
	s_cbranch_scc1 .LBB58_2
	s_branch .LBB58_4
.LBB58_3:
	v_pk_mov_b32 v[4:5], 0, 0
	v_pk_mov_b32 v[2:3], v[0:1], v[0:1] op_sel:[0,1]
.LBB58_4:
	s_load_dwordx2 s[0:1], s[4:5], 0x0
	v_lshl_or_b32 v0, s6, 8, v0
	v_mov_b32_e32 v1, 0
	v_lshlrev_b64 v[0:1], 4, v[0:1]
	s_waitcnt lgkmcnt(0)
	v_mov_b32_e32 v6, s1
	v_add_co_u32_e32 v0, vcc, s0, v0
	v_addc_co_u32_e32 v1, vcc, v6, v1, vcc
	global_store_dwordx4 v[0:1], v[2:5], off
	s_endpgm
	.section	.rodata,"a",@progbits
	.p2align	6, 0x0
	.amdhsa_kernel _Z20warp_exchange_kernelILj256ELj1ELj16E18ScatterToStripedOpnEvPT3_j
		.amdhsa_group_segment_fixed_size 4096
		.amdhsa_private_segment_fixed_size 0
		.amdhsa_kernarg_size 12
		.amdhsa_user_sgpr_count 6
		.amdhsa_user_sgpr_private_segment_buffer 1
		.amdhsa_user_sgpr_dispatch_ptr 0
		.amdhsa_user_sgpr_queue_ptr 0
		.amdhsa_user_sgpr_kernarg_segment_ptr 1
		.amdhsa_user_sgpr_dispatch_id 0
		.amdhsa_user_sgpr_flat_scratch_init 0
		.amdhsa_user_sgpr_kernarg_preload_length 0
		.amdhsa_user_sgpr_kernarg_preload_offset 0
		.amdhsa_user_sgpr_private_segment_size 0
		.amdhsa_uses_dynamic_stack 0
		.amdhsa_system_sgpr_private_segment_wavefront_offset 0
		.amdhsa_system_sgpr_workgroup_id_x 1
		.amdhsa_system_sgpr_workgroup_id_y 0
		.amdhsa_system_sgpr_workgroup_id_z 0
		.amdhsa_system_sgpr_workgroup_info 0
		.amdhsa_system_vgpr_workitem_id 0
		.amdhsa_next_free_vgpr 8
		.amdhsa_next_free_sgpr 7
		.amdhsa_accum_offset 8
		.amdhsa_reserve_vcc 1
		.amdhsa_reserve_flat_scratch 0
		.amdhsa_float_round_mode_32 0
		.amdhsa_float_round_mode_16_64 0
		.amdhsa_float_denorm_mode_32 3
		.amdhsa_float_denorm_mode_16_64 3
		.amdhsa_dx10_clamp 1
		.amdhsa_ieee_mode 1
		.amdhsa_fp16_overflow 0
		.amdhsa_tg_split 0
		.amdhsa_exception_fp_ieee_invalid_op 0
		.amdhsa_exception_fp_denorm_src 0
		.amdhsa_exception_fp_ieee_div_zero 0
		.amdhsa_exception_fp_ieee_overflow 0
		.amdhsa_exception_fp_ieee_underflow 0
		.amdhsa_exception_fp_ieee_inexact 0
		.amdhsa_exception_int_div_zero 0
	.end_amdhsa_kernel
	.section	.text._Z20warp_exchange_kernelILj256ELj1ELj16E18ScatterToStripedOpnEvPT3_j,"axG",@progbits,_Z20warp_exchange_kernelILj256ELj1ELj16E18ScatterToStripedOpnEvPT3_j,comdat
.Lfunc_end58:
	.size	_Z20warp_exchange_kernelILj256ELj1ELj16E18ScatterToStripedOpnEvPT3_j, .Lfunc_end58-_Z20warp_exchange_kernelILj256ELj1ELj16E18ScatterToStripedOpnEvPT3_j
                                        ; -- End function
	.section	.AMDGPU.csdata,"",@progbits
; Kernel info:
; codeLenInByte = 204
; NumSgprs: 11
; NumVgprs: 8
; NumAgprs: 0
; TotalNumVgprs: 8
; ScratchSize: 0
; MemoryBound: 0
; FloatMode: 240
; IeeeMode: 1
; LDSByteSize: 4096 bytes/workgroup (compile time only)
; SGPRBlocks: 1
; VGPRBlocks: 0
; NumSGPRsForWavesPerEU: 11
; NumVGPRsForWavesPerEU: 8
; AccumOffset: 8
; Occupancy: 8
; WaveLimiterHint : 0
; COMPUTE_PGM_RSRC2:SCRATCH_EN: 0
; COMPUTE_PGM_RSRC2:USER_SGPR: 6
; COMPUTE_PGM_RSRC2:TRAP_HANDLER: 0
; COMPUTE_PGM_RSRC2:TGID_X_EN: 1
; COMPUTE_PGM_RSRC2:TGID_Y_EN: 0
; COMPUTE_PGM_RSRC2:TGID_Z_EN: 0
; COMPUTE_PGM_RSRC2:TIDIG_COMP_CNT: 0
; COMPUTE_PGM_RSRC3_GFX90A:ACCUM_OFFSET: 1
; COMPUTE_PGM_RSRC3_GFX90A:TG_SPLIT: 0
	.section	.text._Z20warp_exchange_kernelILj256ELj1ELj32E18ScatterToStripedOpnEvPT3_j,"axG",@progbits,_Z20warp_exchange_kernelILj256ELj1ELj32E18ScatterToStripedOpnEvPT3_j,comdat
	.protected	_Z20warp_exchange_kernelILj256ELj1ELj32E18ScatterToStripedOpnEvPT3_j ; -- Begin function _Z20warp_exchange_kernelILj256ELj1ELj32E18ScatterToStripedOpnEvPT3_j
	.globl	_Z20warp_exchange_kernelILj256ELj1ELj32E18ScatterToStripedOpnEvPT3_j
	.p2align	8
	.type	_Z20warp_exchange_kernelILj256ELj1ELj32E18ScatterToStripedOpnEvPT3_j,@function
_Z20warp_exchange_kernelILj256ELj1ELj32E18ScatterToStripedOpnEvPT3_j: ; @_Z20warp_exchange_kernelILj256ELj1ELj32E18ScatterToStripedOpnEvPT3_j
; %bb.0:
	s_load_dword s0, s[4:5], 0x8
	v_mov_b32_e32 v1, 0
	s_waitcnt lgkmcnt(0)
	s_cmp_eq_u32 s0, 0
	s_cbranch_scc1 .LBB59_3
; %bb.1:
	v_mbcnt_lo_u32_b32 v6, -1, 0
	v_not_b32_e32 v2, v0
	v_lshlrev_b32_e32 v3, 4, v0
	v_mbcnt_hi_u32_b32 v6, -1, v6
	v_and_b32_e32 v2, 31, v2
	v_and_b32_e32 v3, 0xe00, v3
	;; [unrolled: 1-line block ×3, first 2 shown]
	v_pk_mov_b32 v[4:5], 0, 0
	v_lshl_or_b32 v6, v2, 4, v3
	v_lshl_or_b32 v7, v7, 4, v3
	v_pk_mov_b32 v[2:3], v[0:1], v[0:1] op_sel:[0,1]
.LBB59_2:                               ; =>This Inner Loop Header: Depth=1
	s_waitcnt lgkmcnt(0)
	ds_write_b128 v6, v[2:5]
	; wave barrier
	ds_read_b128 v[2:5], v7
	s_add_i32 s0, s0, -1
	s_cmp_lg_u32 s0, 0
	; wave barrier
	s_cbranch_scc1 .LBB59_2
	s_branch .LBB59_4
.LBB59_3:
	v_pk_mov_b32 v[4:5], 0, 0
	v_pk_mov_b32 v[2:3], v[0:1], v[0:1] op_sel:[0,1]
.LBB59_4:
	s_load_dwordx2 s[0:1], s[4:5], 0x0
	v_lshl_or_b32 v0, s6, 8, v0
	v_mov_b32_e32 v1, 0
	v_lshlrev_b64 v[0:1], 4, v[0:1]
	s_waitcnt lgkmcnt(0)
	v_mov_b32_e32 v6, s1
	v_add_co_u32_e32 v0, vcc, s0, v0
	v_addc_co_u32_e32 v1, vcc, v6, v1, vcc
	global_store_dwordx4 v[0:1], v[2:5], off
	s_endpgm
	.section	.rodata,"a",@progbits
	.p2align	6, 0x0
	.amdhsa_kernel _Z20warp_exchange_kernelILj256ELj1ELj32E18ScatterToStripedOpnEvPT3_j
		.amdhsa_group_segment_fixed_size 4096
		.amdhsa_private_segment_fixed_size 0
		.amdhsa_kernarg_size 12
		.amdhsa_user_sgpr_count 6
		.amdhsa_user_sgpr_private_segment_buffer 1
		.amdhsa_user_sgpr_dispatch_ptr 0
		.amdhsa_user_sgpr_queue_ptr 0
		.amdhsa_user_sgpr_kernarg_segment_ptr 1
		.amdhsa_user_sgpr_dispatch_id 0
		.amdhsa_user_sgpr_flat_scratch_init 0
		.amdhsa_user_sgpr_kernarg_preload_length 0
		.amdhsa_user_sgpr_kernarg_preload_offset 0
		.amdhsa_user_sgpr_private_segment_size 0
		.amdhsa_uses_dynamic_stack 0
		.amdhsa_system_sgpr_private_segment_wavefront_offset 0
		.amdhsa_system_sgpr_workgroup_id_x 1
		.amdhsa_system_sgpr_workgroup_id_y 0
		.amdhsa_system_sgpr_workgroup_id_z 0
		.amdhsa_system_sgpr_workgroup_info 0
		.amdhsa_system_vgpr_workitem_id 0
		.amdhsa_next_free_vgpr 8
		.amdhsa_next_free_sgpr 7
		.amdhsa_accum_offset 8
		.amdhsa_reserve_vcc 1
		.amdhsa_reserve_flat_scratch 0
		.amdhsa_float_round_mode_32 0
		.amdhsa_float_round_mode_16_64 0
		.amdhsa_float_denorm_mode_32 3
		.amdhsa_float_denorm_mode_16_64 3
		.amdhsa_dx10_clamp 1
		.amdhsa_ieee_mode 1
		.amdhsa_fp16_overflow 0
		.amdhsa_tg_split 0
		.amdhsa_exception_fp_ieee_invalid_op 0
		.amdhsa_exception_fp_denorm_src 0
		.amdhsa_exception_fp_ieee_div_zero 0
		.amdhsa_exception_fp_ieee_overflow 0
		.amdhsa_exception_fp_ieee_underflow 0
		.amdhsa_exception_fp_ieee_inexact 0
		.amdhsa_exception_int_div_zero 0
	.end_amdhsa_kernel
	.section	.text._Z20warp_exchange_kernelILj256ELj1ELj32E18ScatterToStripedOpnEvPT3_j,"axG",@progbits,_Z20warp_exchange_kernelILj256ELj1ELj32E18ScatterToStripedOpnEvPT3_j,comdat
.Lfunc_end59:
	.size	_Z20warp_exchange_kernelILj256ELj1ELj32E18ScatterToStripedOpnEvPT3_j, .Lfunc_end59-_Z20warp_exchange_kernelILj256ELj1ELj32E18ScatterToStripedOpnEvPT3_j
                                        ; -- End function
	.section	.AMDGPU.csdata,"",@progbits
; Kernel info:
; codeLenInByte = 204
; NumSgprs: 11
; NumVgprs: 8
; NumAgprs: 0
; TotalNumVgprs: 8
; ScratchSize: 0
; MemoryBound: 0
; FloatMode: 240
; IeeeMode: 1
; LDSByteSize: 4096 bytes/workgroup (compile time only)
; SGPRBlocks: 1
; VGPRBlocks: 0
; NumSGPRsForWavesPerEU: 11
; NumVGPRsForWavesPerEU: 8
; AccumOffset: 8
; Occupancy: 8
; WaveLimiterHint : 0
; COMPUTE_PGM_RSRC2:SCRATCH_EN: 0
; COMPUTE_PGM_RSRC2:USER_SGPR: 6
; COMPUTE_PGM_RSRC2:TRAP_HANDLER: 0
; COMPUTE_PGM_RSRC2:TGID_X_EN: 1
; COMPUTE_PGM_RSRC2:TGID_Y_EN: 0
; COMPUTE_PGM_RSRC2:TGID_Z_EN: 0
; COMPUTE_PGM_RSRC2:TIDIG_COMP_CNT: 0
; COMPUTE_PGM_RSRC3_GFX90A:ACCUM_OFFSET: 1
; COMPUTE_PGM_RSRC3_GFX90A:TG_SPLIT: 0
	.section	.text._Z20warp_exchange_kernelILj256ELj4ELj16E18ScatterToStripedOpnEvPT3_j,"axG",@progbits,_Z20warp_exchange_kernelILj256ELj4ELj16E18ScatterToStripedOpnEvPT3_j,comdat
	.protected	_Z20warp_exchange_kernelILj256ELj4ELj16E18ScatterToStripedOpnEvPT3_j ; -- Begin function _Z20warp_exchange_kernelILj256ELj4ELj16E18ScatterToStripedOpnEvPT3_j
	.globl	_Z20warp_exchange_kernelILj256ELj4ELj16E18ScatterToStripedOpnEvPT3_j
	.p2align	8
	.type	_Z20warp_exchange_kernelILj256ELj4ELj16E18ScatterToStripedOpnEvPT3_j,@function
_Z20warp_exchange_kernelILj256ELj4ELj16E18ScatterToStripedOpnEvPT3_j: ; @_Z20warp_exchange_kernelILj256ELj4ELj16E18ScatterToStripedOpnEvPT3_j
; %bb.0:
	s_load_dword s0, s[4:5], 0x8
	v_lshlrev_b32_e32 v18, 2, v0
	v_or_b32_e32 v10, 1, v18
	v_or_b32_e32 v6, 2, v18
	;; [unrolled: 1-line block ×3, first 2 shown]
	s_waitcnt lgkmcnt(0)
	s_cmp_eq_u32 s0, 0
	s_cbranch_scc1 .LBB60_3
; %bb.1:
	v_lshlrev_b32_e32 v0, 6, v0
	v_and_b32_e32 v1, 60, v18
	v_and_b32_e32 v9, 0x3c00, v0
	v_mbcnt_lo_u32_b32 v0, -1, 0
	v_mov_b32_e32 v3, 0
	v_xor_b32_e32 v8, 60, v1
	v_mbcnt_hi_u32_b32 v12, -1, v0
	v_pk_mov_b32 v[4:5], 0, 0
	v_mov_b32_e32 v19, v3
	v_lshl_or_b32 v0, v8, 4, v9
	v_and_b32_e32 v8, 15, v12
	v_pk_mov_b32 v[16:17], 0, 0
	v_mov_b32_e32 v7, v3
	v_mov_b32_e32 v11, v3
	v_lshl_or_b32 v1, v1, 4, v9
	v_lshl_or_b32 v20, v8, 4, v9
	v_pk_mov_b32 v[8:9], v[4:5], v[4:5] op_sel:[0,1]
	v_pk_mov_b32 v[12:13], v[4:5], v[4:5] op_sel:[0,1]
	;; [unrolled: 1-line block ×3, first 2 shown]
.LBB60_2:                               ; =>This Inner Loop Header: Depth=1
	s_waitcnt lgkmcnt(3)
	ds_write_b128 v0, v[14:17]
	s_waitcnt lgkmcnt(3)
	ds_write_b128 v1, v[10:13] offset:16
	s_waitcnt lgkmcnt(3)
	ds_write_b128 v0, v[6:9] offset:32
	;; [unrolled: 2-line block ×3, first 2 shown]
	; wave barrier
	ds_read_b128 v[14:17], v20
	ds_read_b128 v[10:13], v20 offset:256
	ds_read_b128 v[6:9], v20 offset:512
	;; [unrolled: 1-line block ×3, first 2 shown]
	s_add_i32 s0, s0, -1
	s_cmp_lg_u32 s0, 0
	; wave barrier
	s_cbranch_scc1 .LBB60_2
	s_branch .LBB60_4
.LBB60_3:
	v_mov_b32_e32 v19, 0
	v_pk_mov_b32 v[16:17], 0, 0
	v_pk_mov_b32 v[4:5], 0, 0
	v_mov_b32_e32 v11, v19
	v_mov_b32_e32 v7, v19
	;; [unrolled: 1-line block ×3, first 2 shown]
	v_pk_mov_b32 v[14:15], v[18:19], v[18:19] op_sel:[0,1]
	v_pk_mov_b32 v[12:13], v[16:17], v[16:17] op_sel:[0,1]
	;; [unrolled: 1-line block ×3, first 2 shown]
.LBB60_4:
	s_load_dwordx2 s[0:1], s[4:5], 0x0
	v_lshl_or_b32 v0, s6, 10, v18
	v_mov_b32_e32 v1, 0
	v_lshlrev_b64 v[0:1], 4, v[0:1]
	s_waitcnt lgkmcnt(0)
	v_mov_b32_e32 v18, s1
	v_add_co_u32_e32 v0, vcc, s0, v0
	v_addc_co_u32_e32 v1, vcc, v18, v1, vcc
	global_store_dwordx4 v[0:1], v[14:17], off
	global_store_dwordx4 v[0:1], v[10:13], off offset:16
	global_store_dwordx4 v[0:1], v[6:9], off offset:32
	;; [unrolled: 1-line block ×3, first 2 shown]
	s_endpgm
	.section	.rodata,"a",@progbits
	.p2align	6, 0x0
	.amdhsa_kernel _Z20warp_exchange_kernelILj256ELj4ELj16E18ScatterToStripedOpnEvPT3_j
		.amdhsa_group_segment_fixed_size 16384
		.amdhsa_private_segment_fixed_size 0
		.amdhsa_kernarg_size 12
		.amdhsa_user_sgpr_count 6
		.amdhsa_user_sgpr_private_segment_buffer 1
		.amdhsa_user_sgpr_dispatch_ptr 0
		.amdhsa_user_sgpr_queue_ptr 0
		.amdhsa_user_sgpr_kernarg_segment_ptr 1
		.amdhsa_user_sgpr_dispatch_id 0
		.amdhsa_user_sgpr_flat_scratch_init 0
		.amdhsa_user_sgpr_kernarg_preload_length 0
		.amdhsa_user_sgpr_kernarg_preload_offset 0
		.amdhsa_user_sgpr_private_segment_size 0
		.amdhsa_uses_dynamic_stack 0
		.amdhsa_system_sgpr_private_segment_wavefront_offset 0
		.amdhsa_system_sgpr_workgroup_id_x 1
		.amdhsa_system_sgpr_workgroup_id_y 0
		.amdhsa_system_sgpr_workgroup_id_z 0
		.amdhsa_system_sgpr_workgroup_info 0
		.amdhsa_system_vgpr_workitem_id 0
		.amdhsa_next_free_vgpr 21
		.amdhsa_next_free_sgpr 7
		.amdhsa_accum_offset 24
		.amdhsa_reserve_vcc 1
		.amdhsa_reserve_flat_scratch 0
		.amdhsa_float_round_mode_32 0
		.amdhsa_float_round_mode_16_64 0
		.amdhsa_float_denorm_mode_32 3
		.amdhsa_float_denorm_mode_16_64 3
		.amdhsa_dx10_clamp 1
		.amdhsa_ieee_mode 1
		.amdhsa_fp16_overflow 0
		.amdhsa_tg_split 0
		.amdhsa_exception_fp_ieee_invalid_op 0
		.amdhsa_exception_fp_denorm_src 0
		.amdhsa_exception_fp_ieee_div_zero 0
		.amdhsa_exception_fp_ieee_overflow 0
		.amdhsa_exception_fp_ieee_underflow 0
		.amdhsa_exception_fp_ieee_inexact 0
		.amdhsa_exception_int_div_zero 0
	.end_amdhsa_kernel
	.section	.text._Z20warp_exchange_kernelILj256ELj4ELj16E18ScatterToStripedOpnEvPT3_j,"axG",@progbits,_Z20warp_exchange_kernelILj256ELj4ELj16E18ScatterToStripedOpnEvPT3_j,comdat
.Lfunc_end60:
	.size	_Z20warp_exchange_kernelILj256ELj4ELj16E18ScatterToStripedOpnEvPT3_j, .Lfunc_end60-_Z20warp_exchange_kernelILj256ELj4ELj16E18ScatterToStripedOpnEvPT3_j
                                        ; -- End function
	.section	.AMDGPU.csdata,"",@progbits
; Kernel info:
; codeLenInByte = 388
; NumSgprs: 11
; NumVgprs: 21
; NumAgprs: 0
; TotalNumVgprs: 21
; ScratchSize: 0
; MemoryBound: 0
; FloatMode: 240
; IeeeMode: 1
; LDSByteSize: 16384 bytes/workgroup (compile time only)
; SGPRBlocks: 1
; VGPRBlocks: 2
; NumSGPRsForWavesPerEU: 11
; NumVGPRsForWavesPerEU: 21
; AccumOffset: 24
; Occupancy: 4
; WaveLimiterHint : 0
; COMPUTE_PGM_RSRC2:SCRATCH_EN: 0
; COMPUTE_PGM_RSRC2:USER_SGPR: 6
; COMPUTE_PGM_RSRC2:TRAP_HANDLER: 0
; COMPUTE_PGM_RSRC2:TGID_X_EN: 1
; COMPUTE_PGM_RSRC2:TGID_Y_EN: 0
; COMPUTE_PGM_RSRC2:TGID_Z_EN: 0
; COMPUTE_PGM_RSRC2:TIDIG_COMP_CNT: 0
; COMPUTE_PGM_RSRC3_GFX90A:ACCUM_OFFSET: 5
; COMPUTE_PGM_RSRC3_GFX90A:TG_SPLIT: 0
	.section	.text._Z20warp_exchange_kernelILj256ELj4ELj32E18ScatterToStripedOpnEvPT3_j,"axG",@progbits,_Z20warp_exchange_kernelILj256ELj4ELj32E18ScatterToStripedOpnEvPT3_j,comdat
	.protected	_Z20warp_exchange_kernelILj256ELj4ELj32E18ScatterToStripedOpnEvPT3_j ; -- Begin function _Z20warp_exchange_kernelILj256ELj4ELj32E18ScatterToStripedOpnEvPT3_j
	.globl	_Z20warp_exchange_kernelILj256ELj4ELj32E18ScatterToStripedOpnEvPT3_j
	.p2align	8
	.type	_Z20warp_exchange_kernelILj256ELj4ELj32E18ScatterToStripedOpnEvPT3_j,@function
_Z20warp_exchange_kernelILj256ELj4ELj32E18ScatterToStripedOpnEvPT3_j: ; @_Z20warp_exchange_kernelILj256ELj4ELj32E18ScatterToStripedOpnEvPT3_j
; %bb.0:
	s_load_dword s0, s[4:5], 0x8
	v_lshlrev_b32_e32 v18, 2, v0
	v_or_b32_e32 v10, 1, v18
	v_or_b32_e32 v6, 2, v18
	;; [unrolled: 1-line block ×3, first 2 shown]
	s_waitcnt lgkmcnt(0)
	s_cmp_eq_u32 s0, 0
	s_cbranch_scc1 .LBB61_3
; %bb.1:
	v_lshlrev_b32_e32 v0, 6, v0
	v_and_b32_e32 v1, 0x7c, v18
	v_and_b32_e32 v9, 0x3800, v0
	v_mbcnt_lo_u32_b32 v0, -1, 0
	v_mov_b32_e32 v3, 0
	v_xor_b32_e32 v8, 0x7c, v1
	v_mbcnt_hi_u32_b32 v12, -1, v0
	v_pk_mov_b32 v[4:5], 0, 0
	v_mov_b32_e32 v19, v3
	v_lshl_or_b32 v0, v8, 4, v9
	v_and_b32_e32 v8, 31, v12
	v_pk_mov_b32 v[16:17], 0, 0
	v_mov_b32_e32 v7, v3
	v_mov_b32_e32 v11, v3
	v_lshl_or_b32 v1, v1, 4, v9
	v_lshl_or_b32 v20, v8, 4, v9
	v_pk_mov_b32 v[8:9], v[4:5], v[4:5] op_sel:[0,1]
	v_pk_mov_b32 v[12:13], v[4:5], v[4:5] op_sel:[0,1]
	;; [unrolled: 1-line block ×3, first 2 shown]
.LBB61_2:                               ; =>This Inner Loop Header: Depth=1
	s_waitcnt lgkmcnt(3)
	ds_write_b128 v0, v[14:17]
	s_waitcnt lgkmcnt(3)
	ds_write_b128 v1, v[10:13] offset:16
	s_waitcnt lgkmcnt(3)
	ds_write_b128 v0, v[6:9] offset:32
	;; [unrolled: 2-line block ×3, first 2 shown]
	; wave barrier
	ds_read_b128 v[14:17], v20
	ds_read_b128 v[10:13], v20 offset:512
	ds_read_b128 v[6:9], v20 offset:1024
	;; [unrolled: 1-line block ×3, first 2 shown]
	s_add_i32 s0, s0, -1
	s_cmp_lg_u32 s0, 0
	; wave barrier
	s_cbranch_scc1 .LBB61_2
	s_branch .LBB61_4
.LBB61_3:
	v_mov_b32_e32 v19, 0
	v_pk_mov_b32 v[16:17], 0, 0
	v_pk_mov_b32 v[4:5], 0, 0
	v_mov_b32_e32 v11, v19
	v_mov_b32_e32 v7, v19
	;; [unrolled: 1-line block ×3, first 2 shown]
	v_pk_mov_b32 v[14:15], v[18:19], v[18:19] op_sel:[0,1]
	v_pk_mov_b32 v[12:13], v[16:17], v[16:17] op_sel:[0,1]
	;; [unrolled: 1-line block ×3, first 2 shown]
.LBB61_4:
	s_load_dwordx2 s[0:1], s[4:5], 0x0
	v_lshl_or_b32 v0, s6, 10, v18
	v_mov_b32_e32 v1, 0
	v_lshlrev_b64 v[0:1], 4, v[0:1]
	s_waitcnt lgkmcnt(0)
	v_mov_b32_e32 v18, s1
	v_add_co_u32_e32 v0, vcc, s0, v0
	v_addc_co_u32_e32 v1, vcc, v18, v1, vcc
	global_store_dwordx4 v[0:1], v[14:17], off
	global_store_dwordx4 v[0:1], v[10:13], off offset:16
	global_store_dwordx4 v[0:1], v[6:9], off offset:32
	;; [unrolled: 1-line block ×3, first 2 shown]
	s_endpgm
	.section	.rodata,"a",@progbits
	.p2align	6, 0x0
	.amdhsa_kernel _Z20warp_exchange_kernelILj256ELj4ELj32E18ScatterToStripedOpnEvPT3_j
		.amdhsa_group_segment_fixed_size 16384
		.amdhsa_private_segment_fixed_size 0
		.amdhsa_kernarg_size 12
		.amdhsa_user_sgpr_count 6
		.amdhsa_user_sgpr_private_segment_buffer 1
		.amdhsa_user_sgpr_dispatch_ptr 0
		.amdhsa_user_sgpr_queue_ptr 0
		.amdhsa_user_sgpr_kernarg_segment_ptr 1
		.amdhsa_user_sgpr_dispatch_id 0
		.amdhsa_user_sgpr_flat_scratch_init 0
		.amdhsa_user_sgpr_kernarg_preload_length 0
		.amdhsa_user_sgpr_kernarg_preload_offset 0
		.amdhsa_user_sgpr_private_segment_size 0
		.amdhsa_uses_dynamic_stack 0
		.amdhsa_system_sgpr_private_segment_wavefront_offset 0
		.amdhsa_system_sgpr_workgroup_id_x 1
		.amdhsa_system_sgpr_workgroup_id_y 0
		.amdhsa_system_sgpr_workgroup_id_z 0
		.amdhsa_system_sgpr_workgroup_info 0
		.amdhsa_system_vgpr_workitem_id 0
		.amdhsa_next_free_vgpr 21
		.amdhsa_next_free_sgpr 7
		.amdhsa_accum_offset 24
		.amdhsa_reserve_vcc 1
		.amdhsa_reserve_flat_scratch 0
		.amdhsa_float_round_mode_32 0
		.amdhsa_float_round_mode_16_64 0
		.amdhsa_float_denorm_mode_32 3
		.amdhsa_float_denorm_mode_16_64 3
		.amdhsa_dx10_clamp 1
		.amdhsa_ieee_mode 1
		.amdhsa_fp16_overflow 0
		.amdhsa_tg_split 0
		.amdhsa_exception_fp_ieee_invalid_op 0
		.amdhsa_exception_fp_denorm_src 0
		.amdhsa_exception_fp_ieee_div_zero 0
		.amdhsa_exception_fp_ieee_overflow 0
		.amdhsa_exception_fp_ieee_underflow 0
		.amdhsa_exception_fp_ieee_inexact 0
		.amdhsa_exception_int_div_zero 0
	.end_amdhsa_kernel
	.section	.text._Z20warp_exchange_kernelILj256ELj4ELj32E18ScatterToStripedOpnEvPT3_j,"axG",@progbits,_Z20warp_exchange_kernelILj256ELj4ELj32E18ScatterToStripedOpnEvPT3_j,comdat
.Lfunc_end61:
	.size	_Z20warp_exchange_kernelILj256ELj4ELj32E18ScatterToStripedOpnEvPT3_j, .Lfunc_end61-_Z20warp_exchange_kernelILj256ELj4ELj32E18ScatterToStripedOpnEvPT3_j
                                        ; -- End function
	.section	.AMDGPU.csdata,"",@progbits
; Kernel info:
; codeLenInByte = 396
; NumSgprs: 11
; NumVgprs: 21
; NumAgprs: 0
; TotalNumVgprs: 21
; ScratchSize: 0
; MemoryBound: 0
; FloatMode: 240
; IeeeMode: 1
; LDSByteSize: 16384 bytes/workgroup (compile time only)
; SGPRBlocks: 1
; VGPRBlocks: 2
; NumSGPRsForWavesPerEU: 11
; NumVGPRsForWavesPerEU: 21
; AccumOffset: 24
; Occupancy: 4
; WaveLimiterHint : 0
; COMPUTE_PGM_RSRC2:SCRATCH_EN: 0
; COMPUTE_PGM_RSRC2:USER_SGPR: 6
; COMPUTE_PGM_RSRC2:TRAP_HANDLER: 0
; COMPUTE_PGM_RSRC2:TGID_X_EN: 1
; COMPUTE_PGM_RSRC2:TGID_Y_EN: 0
; COMPUTE_PGM_RSRC2:TGID_Z_EN: 0
; COMPUTE_PGM_RSRC2:TIDIG_COMP_CNT: 0
; COMPUTE_PGM_RSRC3_GFX90A:ACCUM_OFFSET: 5
; COMPUTE_PGM_RSRC3_GFX90A:TG_SPLIT: 0
	.section	.text._Z20warp_exchange_kernelILj256ELj16ELj16E18ScatterToStripedOpnEvPT3_j,"axG",@progbits,_Z20warp_exchange_kernelILj256ELj16ELj16E18ScatterToStripedOpnEvPT3_j,comdat
	.protected	_Z20warp_exchange_kernelILj256ELj16ELj16E18ScatterToStripedOpnEvPT3_j ; -- Begin function _Z20warp_exchange_kernelILj256ELj16ELj16E18ScatterToStripedOpnEvPT3_j
	.globl	_Z20warp_exchange_kernelILj256ELj16ELj16E18ScatterToStripedOpnEvPT3_j
	.p2align	8
	.type	_Z20warp_exchange_kernelILj256ELj16ELj16E18ScatterToStripedOpnEvPT3_j,@function
_Z20warp_exchange_kernelILj256ELj16ELj16E18ScatterToStripedOpnEvPT3_j: ; @_Z20warp_exchange_kernelILj256ELj16ELj16E18ScatterToStripedOpnEvPT3_j
; %bb.0:
	s_load_dword s0, s[4:5], 0x8
	v_lshlrev_b32_e32 v66, 4, v0
	v_or_b32_e32 v58, 1, v66
	v_or_b32_e32 v54, 2, v66
	;; [unrolled: 1-line block ×14, first 2 shown]
	s_waitcnt lgkmcnt(0)
	s_cmp_eq_u32 s0, 0
	v_or_b32_e32 v2, 15, v66
	s_cbranch_scc1 .LBB62_3
; %bb.1:
	v_lshlrev_b32_e32 v0, 8, v0
	v_and_b32_e32 v5, 0xf000, v0
	v_mbcnt_lo_u32_b32 v0, -1, 0
	v_mov_b32_e32 v3, 0
	v_and_b32_e32 v4, 0xf0, v66
	v_mbcnt_hi_u32_b32 v0, -1, v0
	v_pk_mov_b32 v[60:61], 0, 0
	v_mov_b32_e32 v67, v3
	v_xor_b32_e32 v1, 0xf0, v4
	v_and_b32_e32 v0, 15, v0
	v_pk_mov_b32 v[64:65], 0, 0
	v_mov_b32_e32 v7, v3
	v_mov_b32_e32 v11, v3
	v_mov_b32_e32 v15, v3
	v_mov_b32_e32 v19, v3
	v_mov_b32_e32 v23, v3
	v_mov_b32_e32 v27, v3
	v_mov_b32_e32 v31, v3
	v_mov_b32_e32 v35, v3
	v_mov_b32_e32 v39, v3
	v_mov_b32_e32 v43, v3
	v_mov_b32_e32 v47, v3
	v_mov_b32_e32 v51, v3
	v_mov_b32_e32 v55, v3
	v_mov_b32_e32 v59, v3
	v_lshl_or_b32 v0, v0, 4, v5
	v_lshl_or_b32 v1, v1, 4, v5
	;; [unrolled: 1-line block ×3, first 2 shown]
	v_pk_mov_b32 v[62:63], v[66:67], v[66:67] op_sel:[0,1]
	v_pk_mov_b32 v[56:57], v[60:61], v[60:61] op_sel:[0,1]
	;; [unrolled: 1-line block ×15, first 2 shown]
.LBB62_2:                               ; =>This Inner Loop Header: Depth=1
	s_waitcnt lgkmcnt(14)
	ds_write_b128 v1, v[62:65]
	ds_write_b128 v68, v[58:61] offset:16
	s_waitcnt lgkmcnt(14)
	ds_write_b128 v1, v[54:57] offset:32
	ds_write_b128 v68, v[50:53] offset:48
	s_waitcnt lgkmcnt(14)
	ds_write_b128 v1, v[46:49] offset:64
	;; [unrolled: 3-line block ×7, first 2 shown]
	ds_write_b128 v68, v[2:5] offset:240
	; wave barrier
	ds_read_b128 v[62:65], v0
	ds_read_b128 v[58:61], v0 offset:256
	ds_read_b128 v[54:57], v0 offset:512
	;; [unrolled: 1-line block ×15, first 2 shown]
	s_add_i32 s0, s0, -1
	s_cmp_lg_u32 s0, 0
	; wave barrier
	s_cbranch_scc1 .LBB62_2
	s_branch .LBB62_4
.LBB62_3:
	v_mov_b32_e32 v67, 0
	v_pk_mov_b32 v[8:9], 0, 0
	v_pk_mov_b32 v[4:5], 0, 0
	v_mov_b32_e32 v59, v67
	v_mov_b32_e32 v55, v67
	;; [unrolled: 1-line block ×15, first 2 shown]
	v_pk_mov_b32 v[12:13], v[8:9], v[8:9] op_sel:[0,1]
	v_pk_mov_b32 v[16:17], v[8:9], v[8:9] op_sel:[0,1]
	;; [unrolled: 1-line block ×15, first 2 shown]
.LBB62_4:
	s_load_dwordx2 s[0:1], s[4:5], 0x0
	v_lshl_or_b32 v0, s6, 12, v66
	v_mov_b32_e32 v1, 0
	v_lshlrev_b64 v[0:1], 4, v[0:1]
	s_waitcnt lgkmcnt(0)
	v_mov_b32_e32 v66, s1
	v_add_co_u32_e32 v0, vcc, s0, v0
	v_addc_co_u32_e32 v1, vcc, v66, v1, vcc
	global_store_dwordx4 v[0:1], v[62:65], off
	global_store_dwordx4 v[0:1], v[58:61], off offset:16
	global_store_dwordx4 v[0:1], v[54:57], off offset:32
	;; [unrolled: 1-line block ×15, first 2 shown]
	s_endpgm
	.section	.rodata,"a",@progbits
	.p2align	6, 0x0
	.amdhsa_kernel _Z20warp_exchange_kernelILj256ELj16ELj16E18ScatterToStripedOpnEvPT3_j
		.amdhsa_group_segment_fixed_size 65536
		.amdhsa_private_segment_fixed_size 0
		.amdhsa_kernarg_size 12
		.amdhsa_user_sgpr_count 6
		.amdhsa_user_sgpr_private_segment_buffer 1
		.amdhsa_user_sgpr_dispatch_ptr 0
		.amdhsa_user_sgpr_queue_ptr 0
		.amdhsa_user_sgpr_kernarg_segment_ptr 1
		.amdhsa_user_sgpr_dispatch_id 0
		.amdhsa_user_sgpr_flat_scratch_init 0
		.amdhsa_user_sgpr_kernarg_preload_length 0
		.amdhsa_user_sgpr_kernarg_preload_offset 0
		.amdhsa_user_sgpr_private_segment_size 0
		.amdhsa_uses_dynamic_stack 0
		.amdhsa_system_sgpr_private_segment_wavefront_offset 0
		.amdhsa_system_sgpr_workgroup_id_x 1
		.amdhsa_system_sgpr_workgroup_id_y 0
		.amdhsa_system_sgpr_workgroup_id_z 0
		.amdhsa_system_sgpr_workgroup_info 0
		.amdhsa_system_vgpr_workitem_id 0
		.amdhsa_next_free_vgpr 69
		.amdhsa_next_free_sgpr 7
		.amdhsa_accum_offset 72
		.amdhsa_reserve_vcc 1
		.amdhsa_reserve_flat_scratch 0
		.amdhsa_float_round_mode_32 0
		.amdhsa_float_round_mode_16_64 0
		.amdhsa_float_denorm_mode_32 3
		.amdhsa_float_denorm_mode_16_64 3
		.amdhsa_dx10_clamp 1
		.amdhsa_ieee_mode 1
		.amdhsa_fp16_overflow 0
		.amdhsa_tg_split 0
		.amdhsa_exception_fp_ieee_invalid_op 0
		.amdhsa_exception_fp_denorm_src 0
		.amdhsa_exception_fp_ieee_div_zero 0
		.amdhsa_exception_fp_ieee_overflow 0
		.amdhsa_exception_fp_ieee_underflow 0
		.amdhsa_exception_fp_ieee_inexact 0
		.amdhsa_exception_int_div_zero 0
	.end_amdhsa_kernel
	.section	.text._Z20warp_exchange_kernelILj256ELj16ELj16E18ScatterToStripedOpnEvPT3_j,"axG",@progbits,_Z20warp_exchange_kernelILj256ELj16ELj16E18ScatterToStripedOpnEvPT3_j,comdat
.Lfunc_end62:
	.size	_Z20warp_exchange_kernelILj256ELj16ELj16E18ScatterToStripedOpnEvPT3_j, .Lfunc_end62-_Z20warp_exchange_kernelILj256ELj16ELj16E18ScatterToStripedOpnEvPT3_j
                                        ; -- End function
	.section	.AMDGPU.csdata,"",@progbits
; Kernel info:
; codeLenInByte = 1036
; NumSgprs: 11
; NumVgprs: 69
; NumAgprs: 0
; TotalNumVgprs: 69
; ScratchSize: 0
; MemoryBound: 1
; FloatMode: 240
; IeeeMode: 1
; LDSByteSize: 65536 bytes/workgroup (compile time only)
; SGPRBlocks: 1
; VGPRBlocks: 8
; NumSGPRsForWavesPerEU: 11
; NumVGPRsForWavesPerEU: 69
; AccumOffset: 72
; Occupancy: 1
; WaveLimiterHint : 1
; COMPUTE_PGM_RSRC2:SCRATCH_EN: 0
; COMPUTE_PGM_RSRC2:USER_SGPR: 6
; COMPUTE_PGM_RSRC2:TRAP_HANDLER: 0
; COMPUTE_PGM_RSRC2:TGID_X_EN: 1
; COMPUTE_PGM_RSRC2:TGID_Y_EN: 0
; COMPUTE_PGM_RSRC2:TGID_Z_EN: 0
; COMPUTE_PGM_RSRC2:TIDIG_COMP_CNT: 0
; COMPUTE_PGM_RSRC3_GFX90A:ACCUM_OFFSET: 17
; COMPUTE_PGM_RSRC3_GFX90A:TG_SPLIT: 0
	.section	.text._Z20warp_exchange_kernelILj256ELj16ELj32E18ScatterToStripedOpnEvPT3_j,"axG",@progbits,_Z20warp_exchange_kernelILj256ELj16ELj32E18ScatterToStripedOpnEvPT3_j,comdat
	.protected	_Z20warp_exchange_kernelILj256ELj16ELj32E18ScatterToStripedOpnEvPT3_j ; -- Begin function _Z20warp_exchange_kernelILj256ELj16ELj32E18ScatterToStripedOpnEvPT3_j
	.globl	_Z20warp_exchange_kernelILj256ELj16ELj32E18ScatterToStripedOpnEvPT3_j
	.p2align	8
	.type	_Z20warp_exchange_kernelILj256ELj16ELj32E18ScatterToStripedOpnEvPT3_j,@function
_Z20warp_exchange_kernelILj256ELj16ELj32E18ScatterToStripedOpnEvPT3_j: ; @_Z20warp_exchange_kernelILj256ELj16ELj32E18ScatterToStripedOpnEvPT3_j
; %bb.0:
	s_load_dword s0, s[4:5], 0x8
	v_lshlrev_b32_e32 v66, 4, v0
	v_or_b32_e32 v58, 1, v66
	v_or_b32_e32 v54, 2, v66
	;; [unrolled: 1-line block ×14, first 2 shown]
	s_waitcnt lgkmcnt(0)
	s_cmp_eq_u32 s0, 0
	v_or_b32_e32 v2, 15, v66
	s_cbranch_scc1 .LBB63_3
; %bb.1:
	v_lshlrev_b32_e32 v0, 8, v0
	v_and_b32_e32 v5, 0xe000, v0
	v_mbcnt_lo_u32_b32 v0, -1, 0
	v_mov_b32_e32 v3, 0
	v_and_b32_e32 v4, 0x1f0, v66
	v_mbcnt_hi_u32_b32 v0, -1, v0
	v_pk_mov_b32 v[60:61], 0, 0
	v_mov_b32_e32 v67, v3
	v_xor_b32_e32 v1, 0x1f0, v4
	v_and_b32_e32 v0, 31, v0
	v_pk_mov_b32 v[64:65], 0, 0
	v_mov_b32_e32 v7, v3
	v_mov_b32_e32 v11, v3
	;; [unrolled: 1-line block ×14, first 2 shown]
	v_lshl_or_b32 v0, v0, 4, v5
	v_lshl_or_b32 v1, v1, 4, v5
	;; [unrolled: 1-line block ×3, first 2 shown]
	v_pk_mov_b32 v[62:63], v[66:67], v[66:67] op_sel:[0,1]
	v_pk_mov_b32 v[56:57], v[60:61], v[60:61] op_sel:[0,1]
	;; [unrolled: 1-line block ×15, first 2 shown]
.LBB63_2:                               ; =>This Inner Loop Header: Depth=1
	s_waitcnt lgkmcnt(14)
	ds_write_b128 v1, v[62:65]
	ds_write_b128 v68, v[58:61] offset:16
	s_waitcnt lgkmcnt(14)
	ds_write_b128 v1, v[54:57] offset:32
	ds_write_b128 v68, v[50:53] offset:48
	s_waitcnt lgkmcnt(14)
	ds_write_b128 v1, v[46:49] offset:64
	;; [unrolled: 3-line block ×7, first 2 shown]
	ds_write_b128 v68, v[2:5] offset:240
	; wave barrier
	ds_read_b128 v[62:65], v0
	ds_read_b128 v[58:61], v0 offset:512
	ds_read_b128 v[54:57], v0 offset:1024
	;; [unrolled: 1-line block ×15, first 2 shown]
	s_add_i32 s0, s0, -1
	s_cmp_lg_u32 s0, 0
	; wave barrier
	s_cbranch_scc1 .LBB63_2
	s_branch .LBB63_4
.LBB63_3:
	v_mov_b32_e32 v67, 0
	v_pk_mov_b32 v[8:9], 0, 0
	v_pk_mov_b32 v[4:5], 0, 0
	v_mov_b32_e32 v59, v67
	v_mov_b32_e32 v55, v67
	;; [unrolled: 1-line block ×15, first 2 shown]
	v_pk_mov_b32 v[12:13], v[8:9], v[8:9] op_sel:[0,1]
	v_pk_mov_b32 v[16:17], v[8:9], v[8:9] op_sel:[0,1]
	v_pk_mov_b32 v[20:21], v[8:9], v[8:9] op_sel:[0,1]
	v_pk_mov_b32 v[24:25], v[8:9], v[8:9] op_sel:[0,1]
	v_pk_mov_b32 v[28:29], v[8:9], v[8:9] op_sel:[0,1]
	v_pk_mov_b32 v[32:33], v[8:9], v[8:9] op_sel:[0,1]
	v_pk_mov_b32 v[36:37], v[8:9], v[8:9] op_sel:[0,1]
	v_pk_mov_b32 v[40:41], v[8:9], v[8:9] op_sel:[0,1]
	v_pk_mov_b32 v[44:45], v[8:9], v[8:9] op_sel:[0,1]
	v_pk_mov_b32 v[48:49], v[8:9], v[8:9] op_sel:[0,1]
	v_pk_mov_b32 v[52:53], v[8:9], v[8:9] op_sel:[0,1]
	v_pk_mov_b32 v[56:57], v[8:9], v[8:9] op_sel:[0,1]
	v_pk_mov_b32 v[60:61], v[8:9], v[8:9] op_sel:[0,1]
	v_pk_mov_b32 v[62:63], v[66:67], v[66:67] op_sel:[0,1]
	v_pk_mov_b32 v[64:65], v[8:9], v[8:9] op_sel:[0,1]
.LBB63_4:
	s_load_dwordx2 s[0:1], s[4:5], 0x0
	v_lshl_or_b32 v0, s6, 12, v66
	v_mov_b32_e32 v1, 0
	v_lshlrev_b64 v[0:1], 4, v[0:1]
	s_waitcnt lgkmcnt(0)
	v_mov_b32_e32 v66, s1
	v_add_co_u32_e32 v0, vcc, s0, v0
	v_addc_co_u32_e32 v1, vcc, v66, v1, vcc
	global_store_dwordx4 v[0:1], v[62:65], off
	global_store_dwordx4 v[0:1], v[58:61], off offset:16
	global_store_dwordx4 v[0:1], v[54:57], off offset:32
	;; [unrolled: 1-line block ×15, first 2 shown]
	s_endpgm
	.section	.rodata,"a",@progbits
	.p2align	6, 0x0
	.amdhsa_kernel _Z20warp_exchange_kernelILj256ELj16ELj32E18ScatterToStripedOpnEvPT3_j
		.amdhsa_group_segment_fixed_size 65536
		.amdhsa_private_segment_fixed_size 0
		.amdhsa_kernarg_size 12
		.amdhsa_user_sgpr_count 6
		.amdhsa_user_sgpr_private_segment_buffer 1
		.amdhsa_user_sgpr_dispatch_ptr 0
		.amdhsa_user_sgpr_queue_ptr 0
		.amdhsa_user_sgpr_kernarg_segment_ptr 1
		.amdhsa_user_sgpr_dispatch_id 0
		.amdhsa_user_sgpr_flat_scratch_init 0
		.amdhsa_user_sgpr_kernarg_preload_length 0
		.amdhsa_user_sgpr_kernarg_preload_offset 0
		.amdhsa_user_sgpr_private_segment_size 0
		.amdhsa_uses_dynamic_stack 0
		.amdhsa_system_sgpr_private_segment_wavefront_offset 0
		.amdhsa_system_sgpr_workgroup_id_x 1
		.amdhsa_system_sgpr_workgroup_id_y 0
		.amdhsa_system_sgpr_workgroup_id_z 0
		.amdhsa_system_sgpr_workgroup_info 0
		.amdhsa_system_vgpr_workitem_id 0
		.amdhsa_next_free_vgpr 69
		.amdhsa_next_free_sgpr 7
		.amdhsa_accum_offset 72
		.amdhsa_reserve_vcc 1
		.amdhsa_reserve_flat_scratch 0
		.amdhsa_float_round_mode_32 0
		.amdhsa_float_round_mode_16_64 0
		.amdhsa_float_denorm_mode_32 3
		.amdhsa_float_denorm_mode_16_64 3
		.amdhsa_dx10_clamp 1
		.amdhsa_ieee_mode 1
		.amdhsa_fp16_overflow 0
		.amdhsa_tg_split 0
		.amdhsa_exception_fp_ieee_invalid_op 0
		.amdhsa_exception_fp_denorm_src 0
		.amdhsa_exception_fp_ieee_div_zero 0
		.amdhsa_exception_fp_ieee_overflow 0
		.amdhsa_exception_fp_ieee_underflow 0
		.amdhsa_exception_fp_ieee_inexact 0
		.amdhsa_exception_int_div_zero 0
	.end_amdhsa_kernel
	.section	.text._Z20warp_exchange_kernelILj256ELj16ELj32E18ScatterToStripedOpnEvPT3_j,"axG",@progbits,_Z20warp_exchange_kernelILj256ELj16ELj32E18ScatterToStripedOpnEvPT3_j,comdat
.Lfunc_end63:
	.size	_Z20warp_exchange_kernelILj256ELj16ELj32E18ScatterToStripedOpnEvPT3_j, .Lfunc_end63-_Z20warp_exchange_kernelILj256ELj16ELj32E18ScatterToStripedOpnEvPT3_j
                                        ; -- End function
	.section	.AMDGPU.csdata,"",@progbits
; Kernel info:
; codeLenInByte = 1036
; NumSgprs: 11
; NumVgprs: 69
; NumAgprs: 0
; TotalNumVgprs: 69
; ScratchSize: 0
; MemoryBound: 1
; FloatMode: 240
; IeeeMode: 1
; LDSByteSize: 65536 bytes/workgroup (compile time only)
; SGPRBlocks: 1
; VGPRBlocks: 8
; NumSGPRsForWavesPerEU: 11
; NumVGPRsForWavesPerEU: 69
; AccumOffset: 72
; Occupancy: 1
; WaveLimiterHint : 1
; COMPUTE_PGM_RSRC2:SCRATCH_EN: 0
; COMPUTE_PGM_RSRC2:USER_SGPR: 6
; COMPUTE_PGM_RSRC2:TRAP_HANDLER: 0
; COMPUTE_PGM_RSRC2:TGID_X_EN: 1
; COMPUTE_PGM_RSRC2:TGID_Y_EN: 0
; COMPUTE_PGM_RSRC2:TGID_Z_EN: 0
; COMPUTE_PGM_RSRC2:TIDIG_COMP_CNT: 0
; COMPUTE_PGM_RSRC3_GFX90A:ACCUM_OFFSET: 17
; COMPUTE_PGM_RSRC3_GFX90A:TG_SPLIT: 0
	.section	.text._Z20warp_exchange_kernelILj256ELj1ELj16EN6common18BlockedToStripedOpEoEvPT3_j,"axG",@progbits,_Z20warp_exchange_kernelILj256ELj1ELj16EN6common18BlockedToStripedOpEoEvPT3_j,comdat
	.protected	_Z20warp_exchange_kernelILj256ELj1ELj16EN6common18BlockedToStripedOpEoEvPT3_j ; -- Begin function _Z20warp_exchange_kernelILj256ELj1ELj16EN6common18BlockedToStripedOpEoEvPT3_j
	.globl	_Z20warp_exchange_kernelILj256ELj1ELj16EN6common18BlockedToStripedOpEoEvPT3_j
	.p2align	8
	.type	_Z20warp_exchange_kernelILj256ELj1ELj16EN6common18BlockedToStripedOpEoEvPT3_j,@function
_Z20warp_exchange_kernelILj256ELj1ELj16EN6common18BlockedToStripedOpEoEvPT3_j: ; @_Z20warp_exchange_kernelILj256ELj1ELj16EN6common18BlockedToStripedOpEoEvPT3_j
; %bb.0:
	s_load_dword s0, s[4:5], 0x8
	v_mov_b32_e32 v1, 0
	v_pk_mov_b32 v[4:5], 0, 0
	s_waitcnt lgkmcnt(0)
	s_cmp_eq_u32 s0, 0
	s_cbranch_scc1 .LBB64_3
; %bb.1:
	v_mbcnt_lo_u32_b32 v3, -1, 0
	v_mbcnt_hi_u32_b32 v3, -1, v3
	v_and_b32_e32 v3, 15, v3
	v_lshlrev_b32_e32 v2, 4, v0
	v_lshlrev_b32_e32 v3, 4, v3
	s_movk_i32 s1, 0xf00
	v_and_or_b32 v6, v2, s1, v3
	v_pk_mov_b32 v[2:3], v[0:1], v[0:1] op_sel:[0,1]
.LBB64_2:                               ; =>This Inner Loop Header: Depth=1
	s_waitcnt lgkmcnt(0)
	ds_write_b128 v6, v[2:5]
	; wave barrier
	ds_read_b128 v[2:5], v6
	s_add_i32 s0, s0, -1
	s_cmp_lg_u32 s0, 0
	; wave barrier
	s_cbranch_scc1 .LBB64_2
	s_branch .LBB64_4
.LBB64_3:
	v_pk_mov_b32 v[2:3], v[0:1], v[0:1] op_sel:[0,1]
.LBB64_4:
	s_load_dwordx2 s[0:1], s[4:5], 0x0
	v_lshl_or_b32 v0, s6, 8, v0
	v_mov_b32_e32 v1, 0
	v_lshlrev_b64 v[0:1], 4, v[0:1]
	s_waitcnt lgkmcnt(0)
	v_mov_b32_e32 v6, s1
	v_add_co_u32_e32 v0, vcc, s0, v0
	v_addc_co_u32_e32 v1, vcc, v6, v1, vcc
	global_store_dwordx4 v[0:1], v[2:5], off
	s_endpgm
	.section	.rodata,"a",@progbits
	.p2align	6, 0x0
	.amdhsa_kernel _Z20warp_exchange_kernelILj256ELj1ELj16EN6common18BlockedToStripedOpEoEvPT3_j
		.amdhsa_group_segment_fixed_size 4096
		.amdhsa_private_segment_fixed_size 0
		.amdhsa_kernarg_size 12
		.amdhsa_user_sgpr_count 6
		.amdhsa_user_sgpr_private_segment_buffer 1
		.amdhsa_user_sgpr_dispatch_ptr 0
		.amdhsa_user_sgpr_queue_ptr 0
		.amdhsa_user_sgpr_kernarg_segment_ptr 1
		.amdhsa_user_sgpr_dispatch_id 0
		.amdhsa_user_sgpr_flat_scratch_init 0
		.amdhsa_user_sgpr_kernarg_preload_length 0
		.amdhsa_user_sgpr_kernarg_preload_offset 0
		.amdhsa_user_sgpr_private_segment_size 0
		.amdhsa_uses_dynamic_stack 0
		.amdhsa_system_sgpr_private_segment_wavefront_offset 0
		.amdhsa_system_sgpr_workgroup_id_x 1
		.amdhsa_system_sgpr_workgroup_id_y 0
		.amdhsa_system_sgpr_workgroup_id_z 0
		.amdhsa_system_sgpr_workgroup_info 0
		.amdhsa_system_vgpr_workitem_id 0
		.amdhsa_next_free_vgpr 7
		.amdhsa_next_free_sgpr 7
		.amdhsa_accum_offset 8
		.amdhsa_reserve_vcc 1
		.amdhsa_reserve_flat_scratch 0
		.amdhsa_float_round_mode_32 0
		.amdhsa_float_round_mode_16_64 0
		.amdhsa_float_denorm_mode_32 3
		.amdhsa_float_denorm_mode_16_64 3
		.amdhsa_dx10_clamp 1
		.amdhsa_ieee_mode 1
		.amdhsa_fp16_overflow 0
		.amdhsa_tg_split 0
		.amdhsa_exception_fp_ieee_invalid_op 0
		.amdhsa_exception_fp_denorm_src 0
		.amdhsa_exception_fp_ieee_div_zero 0
		.amdhsa_exception_fp_ieee_overflow 0
		.amdhsa_exception_fp_ieee_underflow 0
		.amdhsa_exception_fp_ieee_inexact 0
		.amdhsa_exception_int_div_zero 0
	.end_amdhsa_kernel
	.section	.text._Z20warp_exchange_kernelILj256ELj1ELj16EN6common18BlockedToStripedOpEoEvPT3_j,"axG",@progbits,_Z20warp_exchange_kernelILj256ELj1ELj16EN6common18BlockedToStripedOpEoEvPT3_j,comdat
.Lfunc_end64:
	.size	_Z20warp_exchange_kernelILj256ELj1ELj16EN6common18BlockedToStripedOpEoEvPT3_j, .Lfunc_end64-_Z20warp_exchange_kernelILj256ELj1ELj16EN6common18BlockedToStripedOpEoEvPT3_j
                                        ; -- End function
	.section	.AMDGPU.csdata,"",@progbits
; Kernel info:
; codeLenInByte = 180
; NumSgprs: 11
; NumVgprs: 7
; NumAgprs: 0
; TotalNumVgprs: 7
; ScratchSize: 0
; MemoryBound: 0
; FloatMode: 240
; IeeeMode: 1
; LDSByteSize: 4096 bytes/workgroup (compile time only)
; SGPRBlocks: 1
; VGPRBlocks: 0
; NumSGPRsForWavesPerEU: 11
; NumVGPRsForWavesPerEU: 7
; AccumOffset: 8
; Occupancy: 8
; WaveLimiterHint : 0
; COMPUTE_PGM_RSRC2:SCRATCH_EN: 0
; COMPUTE_PGM_RSRC2:USER_SGPR: 6
; COMPUTE_PGM_RSRC2:TRAP_HANDLER: 0
; COMPUTE_PGM_RSRC2:TGID_X_EN: 1
; COMPUTE_PGM_RSRC2:TGID_Y_EN: 0
; COMPUTE_PGM_RSRC2:TGID_Z_EN: 0
; COMPUTE_PGM_RSRC2:TIDIG_COMP_CNT: 0
; COMPUTE_PGM_RSRC3_GFX90A:ACCUM_OFFSET: 1
; COMPUTE_PGM_RSRC3_GFX90A:TG_SPLIT: 0
	.section	.text._Z20warp_exchange_kernelILj256ELj1ELj32EN6common18BlockedToStripedOpEoEvPT3_j,"axG",@progbits,_Z20warp_exchange_kernelILj256ELj1ELj32EN6common18BlockedToStripedOpEoEvPT3_j,comdat
	.protected	_Z20warp_exchange_kernelILj256ELj1ELj32EN6common18BlockedToStripedOpEoEvPT3_j ; -- Begin function _Z20warp_exchange_kernelILj256ELj1ELj32EN6common18BlockedToStripedOpEoEvPT3_j
	.globl	_Z20warp_exchange_kernelILj256ELj1ELj32EN6common18BlockedToStripedOpEoEvPT3_j
	.p2align	8
	.type	_Z20warp_exchange_kernelILj256ELj1ELj32EN6common18BlockedToStripedOpEoEvPT3_j,@function
_Z20warp_exchange_kernelILj256ELj1ELj32EN6common18BlockedToStripedOpEoEvPT3_j: ; @_Z20warp_exchange_kernelILj256ELj1ELj32EN6common18BlockedToStripedOpEoEvPT3_j
; %bb.0:
	s_load_dword s0, s[4:5], 0x8
	v_mov_b32_e32 v1, 0
	v_pk_mov_b32 v[4:5], 0, 0
	s_waitcnt lgkmcnt(0)
	s_cmp_eq_u32 s0, 0
	s_cbranch_scc1 .LBB65_3
; %bb.1:
	v_mbcnt_lo_u32_b32 v3, -1, 0
	v_mbcnt_hi_u32_b32 v3, -1, v3
	v_and_b32_e32 v3, 31, v3
	v_lshlrev_b32_e32 v2, 4, v0
	v_lshlrev_b32_e32 v3, 4, v3
	s_movk_i32 s1, 0xe00
	v_and_or_b32 v6, v2, s1, v3
	v_pk_mov_b32 v[2:3], v[0:1], v[0:1] op_sel:[0,1]
.LBB65_2:                               ; =>This Inner Loop Header: Depth=1
	s_waitcnt lgkmcnt(0)
	ds_write_b128 v6, v[2:5]
	; wave barrier
	ds_read_b128 v[2:5], v6
	s_add_i32 s0, s0, -1
	s_cmp_lg_u32 s0, 0
	; wave barrier
	s_cbranch_scc1 .LBB65_2
	s_branch .LBB65_4
.LBB65_3:
	v_pk_mov_b32 v[2:3], v[0:1], v[0:1] op_sel:[0,1]
.LBB65_4:
	s_load_dwordx2 s[0:1], s[4:5], 0x0
	v_lshl_or_b32 v0, s6, 8, v0
	v_mov_b32_e32 v1, 0
	v_lshlrev_b64 v[0:1], 4, v[0:1]
	s_waitcnt lgkmcnt(0)
	v_mov_b32_e32 v6, s1
	v_add_co_u32_e32 v0, vcc, s0, v0
	v_addc_co_u32_e32 v1, vcc, v6, v1, vcc
	global_store_dwordx4 v[0:1], v[2:5], off
	s_endpgm
	.section	.rodata,"a",@progbits
	.p2align	6, 0x0
	.amdhsa_kernel _Z20warp_exchange_kernelILj256ELj1ELj32EN6common18BlockedToStripedOpEoEvPT3_j
		.amdhsa_group_segment_fixed_size 4096
		.amdhsa_private_segment_fixed_size 0
		.amdhsa_kernarg_size 12
		.amdhsa_user_sgpr_count 6
		.amdhsa_user_sgpr_private_segment_buffer 1
		.amdhsa_user_sgpr_dispatch_ptr 0
		.amdhsa_user_sgpr_queue_ptr 0
		.amdhsa_user_sgpr_kernarg_segment_ptr 1
		.amdhsa_user_sgpr_dispatch_id 0
		.amdhsa_user_sgpr_flat_scratch_init 0
		.amdhsa_user_sgpr_kernarg_preload_length 0
		.amdhsa_user_sgpr_kernarg_preload_offset 0
		.amdhsa_user_sgpr_private_segment_size 0
		.amdhsa_uses_dynamic_stack 0
		.amdhsa_system_sgpr_private_segment_wavefront_offset 0
		.amdhsa_system_sgpr_workgroup_id_x 1
		.amdhsa_system_sgpr_workgroup_id_y 0
		.amdhsa_system_sgpr_workgroup_id_z 0
		.amdhsa_system_sgpr_workgroup_info 0
		.amdhsa_system_vgpr_workitem_id 0
		.amdhsa_next_free_vgpr 7
		.amdhsa_next_free_sgpr 7
		.amdhsa_accum_offset 8
		.amdhsa_reserve_vcc 1
		.amdhsa_reserve_flat_scratch 0
		.amdhsa_float_round_mode_32 0
		.amdhsa_float_round_mode_16_64 0
		.amdhsa_float_denorm_mode_32 3
		.amdhsa_float_denorm_mode_16_64 3
		.amdhsa_dx10_clamp 1
		.amdhsa_ieee_mode 1
		.amdhsa_fp16_overflow 0
		.amdhsa_tg_split 0
		.amdhsa_exception_fp_ieee_invalid_op 0
		.amdhsa_exception_fp_denorm_src 0
		.amdhsa_exception_fp_ieee_div_zero 0
		.amdhsa_exception_fp_ieee_overflow 0
		.amdhsa_exception_fp_ieee_underflow 0
		.amdhsa_exception_fp_ieee_inexact 0
		.amdhsa_exception_int_div_zero 0
	.end_amdhsa_kernel
	.section	.text._Z20warp_exchange_kernelILj256ELj1ELj32EN6common18BlockedToStripedOpEoEvPT3_j,"axG",@progbits,_Z20warp_exchange_kernelILj256ELj1ELj32EN6common18BlockedToStripedOpEoEvPT3_j,comdat
.Lfunc_end65:
	.size	_Z20warp_exchange_kernelILj256ELj1ELj32EN6common18BlockedToStripedOpEoEvPT3_j, .Lfunc_end65-_Z20warp_exchange_kernelILj256ELj1ELj32EN6common18BlockedToStripedOpEoEvPT3_j
                                        ; -- End function
	.section	.AMDGPU.csdata,"",@progbits
; Kernel info:
; codeLenInByte = 180
; NumSgprs: 11
; NumVgprs: 7
; NumAgprs: 0
; TotalNumVgprs: 7
; ScratchSize: 0
; MemoryBound: 0
; FloatMode: 240
; IeeeMode: 1
; LDSByteSize: 4096 bytes/workgroup (compile time only)
; SGPRBlocks: 1
; VGPRBlocks: 0
; NumSGPRsForWavesPerEU: 11
; NumVGPRsForWavesPerEU: 7
; AccumOffset: 8
; Occupancy: 8
; WaveLimiterHint : 0
; COMPUTE_PGM_RSRC2:SCRATCH_EN: 0
; COMPUTE_PGM_RSRC2:USER_SGPR: 6
; COMPUTE_PGM_RSRC2:TRAP_HANDLER: 0
; COMPUTE_PGM_RSRC2:TGID_X_EN: 1
; COMPUTE_PGM_RSRC2:TGID_Y_EN: 0
; COMPUTE_PGM_RSRC2:TGID_Z_EN: 0
; COMPUTE_PGM_RSRC2:TIDIG_COMP_CNT: 0
; COMPUTE_PGM_RSRC3_GFX90A:ACCUM_OFFSET: 1
; COMPUTE_PGM_RSRC3_GFX90A:TG_SPLIT: 0
	.section	.text._Z20warp_exchange_kernelILj256ELj4ELj16EN6common18BlockedToStripedOpEoEvPT3_j,"axG",@progbits,_Z20warp_exchange_kernelILj256ELj4ELj16EN6common18BlockedToStripedOpEoEvPT3_j,comdat
	.protected	_Z20warp_exchange_kernelILj256ELj4ELj16EN6common18BlockedToStripedOpEoEvPT3_j ; -- Begin function _Z20warp_exchange_kernelILj256ELj4ELj16EN6common18BlockedToStripedOpEoEvPT3_j
	.globl	_Z20warp_exchange_kernelILj256ELj4ELj16EN6common18BlockedToStripedOpEoEvPT3_j
	.p2align	8
	.type	_Z20warp_exchange_kernelILj256ELj4ELj16EN6common18BlockedToStripedOpEoEvPT3_j,@function
_Z20warp_exchange_kernelILj256ELj4ELj16EN6common18BlockedToStripedOpEoEvPT3_j: ; @_Z20warp_exchange_kernelILj256ELj4ELj16EN6common18BlockedToStripedOpEoEvPT3_j
; %bb.0:
	s_load_dword s0, s[4:5], 0x8
	v_lshlrev_b32_e32 v18, 2, v0
	v_or_b32_e32 v10, 1, v18
	v_or_b32_e32 v6, 2, v18
	;; [unrolled: 1-line block ×3, first 2 shown]
	s_waitcnt lgkmcnt(0)
	s_cmp_eq_u32 s0, 0
	s_cbranch_scc1 .LBB66_3
; %bb.1:
	v_mbcnt_lo_u32_b32 v1, -1, 0
	v_mbcnt_hi_u32_b32 v1, -1, v1
	v_and_b32_e32 v1, 15, v1
	v_mov_b32_e32 v3, 0
	v_lshlrev_b32_e32 v0, 6, v0
	v_lshlrev_b32_e32 v8, 6, v1
	s_movk_i32 s1, 0x3c00
	v_pk_mov_b32 v[4:5], 0, 0
	v_mov_b32_e32 v19, v3
	v_and_or_b32 v0, v0, s1, v8
	v_mul_i32_i24_e32 v1, 0xffffffd0, v1
	v_pk_mov_b32 v[16:17], 0, 0
	v_mov_b32_e32 v7, v3
	v_mov_b32_e32 v11, v3
	v_add_u32_e32 v1, v0, v1
	v_pk_mov_b32 v[8:9], v[4:5], v[4:5] op_sel:[0,1]
	v_pk_mov_b32 v[12:13], v[4:5], v[4:5] op_sel:[0,1]
	;; [unrolled: 1-line block ×3, first 2 shown]
.LBB66_2:                               ; =>This Inner Loop Header: Depth=1
	s_waitcnt lgkmcnt(3)
	ds_write_b128 v0, v[14:17]
	s_waitcnt lgkmcnt(3)
	ds_write_b128 v0, v[10:13] offset:16
	s_waitcnt lgkmcnt(3)
	ds_write_b128 v0, v[6:9] offset:32
	;; [unrolled: 2-line block ×3, first 2 shown]
	; wave barrier
	ds_read_b128 v[14:17], v1
	ds_read_b128 v[10:13], v1 offset:256
	ds_read_b128 v[6:9], v1 offset:512
	;; [unrolled: 1-line block ×3, first 2 shown]
	s_add_i32 s0, s0, -1
	s_cmp_lg_u32 s0, 0
	; wave barrier
	s_cbranch_scc1 .LBB66_2
	s_branch .LBB66_4
.LBB66_3:
	v_mov_b32_e32 v19, 0
	v_pk_mov_b32 v[16:17], 0, 0
	v_pk_mov_b32 v[4:5], 0, 0
	v_mov_b32_e32 v11, v19
	v_mov_b32_e32 v7, v19
	;; [unrolled: 1-line block ×3, first 2 shown]
	v_pk_mov_b32 v[14:15], v[18:19], v[18:19] op_sel:[0,1]
	v_pk_mov_b32 v[12:13], v[16:17], v[16:17] op_sel:[0,1]
	;; [unrolled: 1-line block ×3, first 2 shown]
.LBB66_4:
	s_load_dwordx2 s[0:1], s[4:5], 0x0
	v_lshl_or_b32 v0, s6, 10, v18
	v_mov_b32_e32 v1, 0
	v_lshlrev_b64 v[0:1], 4, v[0:1]
	s_waitcnt lgkmcnt(0)
	v_mov_b32_e32 v18, s1
	v_add_co_u32_e32 v0, vcc, s0, v0
	v_addc_co_u32_e32 v1, vcc, v18, v1, vcc
	global_store_dwordx4 v[0:1], v[14:17], off
	global_store_dwordx4 v[0:1], v[10:13], off offset:16
	global_store_dwordx4 v[0:1], v[6:9], off offset:32
	global_store_dwordx4 v[0:1], v[2:5], off offset:48
	s_endpgm
	.section	.rodata,"a",@progbits
	.p2align	6, 0x0
	.amdhsa_kernel _Z20warp_exchange_kernelILj256ELj4ELj16EN6common18BlockedToStripedOpEoEvPT3_j
		.amdhsa_group_segment_fixed_size 16384
		.amdhsa_private_segment_fixed_size 0
		.amdhsa_kernarg_size 12
		.amdhsa_user_sgpr_count 6
		.amdhsa_user_sgpr_private_segment_buffer 1
		.amdhsa_user_sgpr_dispatch_ptr 0
		.amdhsa_user_sgpr_queue_ptr 0
		.amdhsa_user_sgpr_kernarg_segment_ptr 1
		.amdhsa_user_sgpr_dispatch_id 0
		.amdhsa_user_sgpr_flat_scratch_init 0
		.amdhsa_user_sgpr_kernarg_preload_length 0
		.amdhsa_user_sgpr_kernarg_preload_offset 0
		.amdhsa_user_sgpr_private_segment_size 0
		.amdhsa_uses_dynamic_stack 0
		.amdhsa_system_sgpr_private_segment_wavefront_offset 0
		.amdhsa_system_sgpr_workgroup_id_x 1
		.amdhsa_system_sgpr_workgroup_id_y 0
		.amdhsa_system_sgpr_workgroup_id_z 0
		.amdhsa_system_sgpr_workgroup_info 0
		.amdhsa_system_vgpr_workitem_id 0
		.amdhsa_next_free_vgpr 20
		.amdhsa_next_free_sgpr 7
		.amdhsa_accum_offset 20
		.amdhsa_reserve_vcc 1
		.amdhsa_reserve_flat_scratch 0
		.amdhsa_float_round_mode_32 0
		.amdhsa_float_round_mode_16_64 0
		.amdhsa_float_denorm_mode_32 3
		.amdhsa_float_denorm_mode_16_64 3
		.amdhsa_dx10_clamp 1
		.amdhsa_ieee_mode 1
		.amdhsa_fp16_overflow 0
		.amdhsa_tg_split 0
		.amdhsa_exception_fp_ieee_invalid_op 0
		.amdhsa_exception_fp_denorm_src 0
		.amdhsa_exception_fp_ieee_div_zero 0
		.amdhsa_exception_fp_ieee_overflow 0
		.amdhsa_exception_fp_ieee_underflow 0
		.amdhsa_exception_fp_ieee_inexact 0
		.amdhsa_exception_int_div_zero 0
	.end_amdhsa_kernel
	.section	.text._Z20warp_exchange_kernelILj256ELj4ELj16EN6common18BlockedToStripedOpEoEvPT3_j,"axG",@progbits,_Z20warp_exchange_kernelILj256ELj4ELj16EN6common18BlockedToStripedOpEoEvPT3_j,comdat
.Lfunc_end66:
	.size	_Z20warp_exchange_kernelILj256ELj4ELj16EN6common18BlockedToStripedOpEoEvPT3_j, .Lfunc_end66-_Z20warp_exchange_kernelILj256ELj4ELj16EN6common18BlockedToStripedOpEoEvPT3_j
                                        ; -- End function
	.section	.AMDGPU.csdata,"",@progbits
; Kernel info:
; codeLenInByte = 376
; NumSgprs: 11
; NumVgprs: 20
; NumAgprs: 0
; TotalNumVgprs: 20
; ScratchSize: 0
; MemoryBound: 0
; FloatMode: 240
; IeeeMode: 1
; LDSByteSize: 16384 bytes/workgroup (compile time only)
; SGPRBlocks: 1
; VGPRBlocks: 2
; NumSGPRsForWavesPerEU: 11
; NumVGPRsForWavesPerEU: 20
; AccumOffset: 20
; Occupancy: 4
; WaveLimiterHint : 0
; COMPUTE_PGM_RSRC2:SCRATCH_EN: 0
; COMPUTE_PGM_RSRC2:USER_SGPR: 6
; COMPUTE_PGM_RSRC2:TRAP_HANDLER: 0
; COMPUTE_PGM_RSRC2:TGID_X_EN: 1
; COMPUTE_PGM_RSRC2:TGID_Y_EN: 0
; COMPUTE_PGM_RSRC2:TGID_Z_EN: 0
; COMPUTE_PGM_RSRC2:TIDIG_COMP_CNT: 0
; COMPUTE_PGM_RSRC3_GFX90A:ACCUM_OFFSET: 4
; COMPUTE_PGM_RSRC3_GFX90A:TG_SPLIT: 0
	.section	.text._Z20warp_exchange_kernelILj256ELj4ELj32EN6common18BlockedToStripedOpEoEvPT3_j,"axG",@progbits,_Z20warp_exchange_kernelILj256ELj4ELj32EN6common18BlockedToStripedOpEoEvPT3_j,comdat
	.protected	_Z20warp_exchange_kernelILj256ELj4ELj32EN6common18BlockedToStripedOpEoEvPT3_j ; -- Begin function _Z20warp_exchange_kernelILj256ELj4ELj32EN6common18BlockedToStripedOpEoEvPT3_j
	.globl	_Z20warp_exchange_kernelILj256ELj4ELj32EN6common18BlockedToStripedOpEoEvPT3_j
	.p2align	8
	.type	_Z20warp_exchange_kernelILj256ELj4ELj32EN6common18BlockedToStripedOpEoEvPT3_j,@function
_Z20warp_exchange_kernelILj256ELj4ELj32EN6common18BlockedToStripedOpEoEvPT3_j: ; @_Z20warp_exchange_kernelILj256ELj4ELj32EN6common18BlockedToStripedOpEoEvPT3_j
; %bb.0:
	s_load_dword s0, s[4:5], 0x8
	v_lshlrev_b32_e32 v18, 2, v0
	v_or_b32_e32 v10, 1, v18
	v_or_b32_e32 v6, 2, v18
	;; [unrolled: 1-line block ×3, first 2 shown]
	s_waitcnt lgkmcnt(0)
	s_cmp_eq_u32 s0, 0
	s_cbranch_scc1 .LBB67_3
; %bb.1:
	v_mbcnt_lo_u32_b32 v1, -1, 0
	v_mbcnt_hi_u32_b32 v1, -1, v1
	v_and_b32_e32 v1, 31, v1
	v_mov_b32_e32 v3, 0
	v_lshlrev_b32_e32 v0, 6, v0
	v_lshlrev_b32_e32 v8, 6, v1
	s_movk_i32 s1, 0x3800
	v_pk_mov_b32 v[4:5], 0, 0
	v_mov_b32_e32 v19, v3
	v_and_or_b32 v0, v0, s1, v8
	v_mul_i32_i24_e32 v1, 0xffffffd0, v1
	v_pk_mov_b32 v[16:17], 0, 0
	v_mov_b32_e32 v7, v3
	v_mov_b32_e32 v11, v3
	v_add_u32_e32 v1, v0, v1
	v_pk_mov_b32 v[8:9], v[4:5], v[4:5] op_sel:[0,1]
	v_pk_mov_b32 v[12:13], v[4:5], v[4:5] op_sel:[0,1]
	;; [unrolled: 1-line block ×3, first 2 shown]
.LBB67_2:                               ; =>This Inner Loop Header: Depth=1
	s_waitcnt lgkmcnt(3)
	ds_write_b128 v0, v[14:17]
	s_waitcnt lgkmcnt(3)
	ds_write_b128 v0, v[10:13] offset:16
	s_waitcnt lgkmcnt(3)
	ds_write_b128 v0, v[6:9] offset:32
	;; [unrolled: 2-line block ×3, first 2 shown]
	; wave barrier
	ds_read_b128 v[14:17], v1
	ds_read_b128 v[10:13], v1 offset:512
	ds_read_b128 v[6:9], v1 offset:1024
	;; [unrolled: 1-line block ×3, first 2 shown]
	s_add_i32 s0, s0, -1
	s_cmp_lg_u32 s0, 0
	; wave barrier
	s_cbranch_scc1 .LBB67_2
	s_branch .LBB67_4
.LBB67_3:
	v_mov_b32_e32 v19, 0
	v_pk_mov_b32 v[16:17], 0, 0
	v_pk_mov_b32 v[4:5], 0, 0
	v_mov_b32_e32 v11, v19
	v_mov_b32_e32 v7, v19
	;; [unrolled: 1-line block ×3, first 2 shown]
	v_pk_mov_b32 v[14:15], v[18:19], v[18:19] op_sel:[0,1]
	v_pk_mov_b32 v[12:13], v[16:17], v[16:17] op_sel:[0,1]
	;; [unrolled: 1-line block ×3, first 2 shown]
.LBB67_4:
	s_load_dwordx2 s[0:1], s[4:5], 0x0
	v_lshl_or_b32 v0, s6, 10, v18
	v_mov_b32_e32 v1, 0
	v_lshlrev_b64 v[0:1], 4, v[0:1]
	s_waitcnt lgkmcnt(0)
	v_mov_b32_e32 v18, s1
	v_add_co_u32_e32 v0, vcc, s0, v0
	v_addc_co_u32_e32 v1, vcc, v18, v1, vcc
	global_store_dwordx4 v[0:1], v[14:17], off
	global_store_dwordx4 v[0:1], v[10:13], off offset:16
	global_store_dwordx4 v[0:1], v[6:9], off offset:32
	;; [unrolled: 1-line block ×3, first 2 shown]
	s_endpgm
	.section	.rodata,"a",@progbits
	.p2align	6, 0x0
	.amdhsa_kernel _Z20warp_exchange_kernelILj256ELj4ELj32EN6common18BlockedToStripedOpEoEvPT3_j
		.amdhsa_group_segment_fixed_size 16384
		.amdhsa_private_segment_fixed_size 0
		.amdhsa_kernarg_size 12
		.amdhsa_user_sgpr_count 6
		.amdhsa_user_sgpr_private_segment_buffer 1
		.amdhsa_user_sgpr_dispatch_ptr 0
		.amdhsa_user_sgpr_queue_ptr 0
		.amdhsa_user_sgpr_kernarg_segment_ptr 1
		.amdhsa_user_sgpr_dispatch_id 0
		.amdhsa_user_sgpr_flat_scratch_init 0
		.amdhsa_user_sgpr_kernarg_preload_length 0
		.amdhsa_user_sgpr_kernarg_preload_offset 0
		.amdhsa_user_sgpr_private_segment_size 0
		.amdhsa_uses_dynamic_stack 0
		.amdhsa_system_sgpr_private_segment_wavefront_offset 0
		.amdhsa_system_sgpr_workgroup_id_x 1
		.amdhsa_system_sgpr_workgroup_id_y 0
		.amdhsa_system_sgpr_workgroup_id_z 0
		.amdhsa_system_sgpr_workgroup_info 0
		.amdhsa_system_vgpr_workitem_id 0
		.amdhsa_next_free_vgpr 20
		.amdhsa_next_free_sgpr 7
		.amdhsa_accum_offset 20
		.amdhsa_reserve_vcc 1
		.amdhsa_reserve_flat_scratch 0
		.amdhsa_float_round_mode_32 0
		.amdhsa_float_round_mode_16_64 0
		.amdhsa_float_denorm_mode_32 3
		.amdhsa_float_denorm_mode_16_64 3
		.amdhsa_dx10_clamp 1
		.amdhsa_ieee_mode 1
		.amdhsa_fp16_overflow 0
		.amdhsa_tg_split 0
		.amdhsa_exception_fp_ieee_invalid_op 0
		.amdhsa_exception_fp_denorm_src 0
		.amdhsa_exception_fp_ieee_div_zero 0
		.amdhsa_exception_fp_ieee_overflow 0
		.amdhsa_exception_fp_ieee_underflow 0
		.amdhsa_exception_fp_ieee_inexact 0
		.amdhsa_exception_int_div_zero 0
	.end_amdhsa_kernel
	.section	.text._Z20warp_exchange_kernelILj256ELj4ELj32EN6common18BlockedToStripedOpEoEvPT3_j,"axG",@progbits,_Z20warp_exchange_kernelILj256ELj4ELj32EN6common18BlockedToStripedOpEoEvPT3_j,comdat
.Lfunc_end67:
	.size	_Z20warp_exchange_kernelILj256ELj4ELj32EN6common18BlockedToStripedOpEoEvPT3_j, .Lfunc_end67-_Z20warp_exchange_kernelILj256ELj4ELj32EN6common18BlockedToStripedOpEoEvPT3_j
                                        ; -- End function
	.section	.AMDGPU.csdata,"",@progbits
; Kernel info:
; codeLenInByte = 376
; NumSgprs: 11
; NumVgprs: 20
; NumAgprs: 0
; TotalNumVgprs: 20
; ScratchSize: 0
; MemoryBound: 0
; FloatMode: 240
; IeeeMode: 1
; LDSByteSize: 16384 bytes/workgroup (compile time only)
; SGPRBlocks: 1
; VGPRBlocks: 2
; NumSGPRsForWavesPerEU: 11
; NumVGPRsForWavesPerEU: 20
; AccumOffset: 20
; Occupancy: 4
; WaveLimiterHint : 0
; COMPUTE_PGM_RSRC2:SCRATCH_EN: 0
; COMPUTE_PGM_RSRC2:USER_SGPR: 6
; COMPUTE_PGM_RSRC2:TRAP_HANDLER: 0
; COMPUTE_PGM_RSRC2:TGID_X_EN: 1
; COMPUTE_PGM_RSRC2:TGID_Y_EN: 0
; COMPUTE_PGM_RSRC2:TGID_Z_EN: 0
; COMPUTE_PGM_RSRC2:TIDIG_COMP_CNT: 0
; COMPUTE_PGM_RSRC3_GFX90A:ACCUM_OFFSET: 4
; COMPUTE_PGM_RSRC3_GFX90A:TG_SPLIT: 0
	.section	.text._Z20warp_exchange_kernelILj256ELj16ELj16EN6common18BlockedToStripedOpEoEvPT3_j,"axG",@progbits,_Z20warp_exchange_kernelILj256ELj16ELj16EN6common18BlockedToStripedOpEoEvPT3_j,comdat
	.protected	_Z20warp_exchange_kernelILj256ELj16ELj16EN6common18BlockedToStripedOpEoEvPT3_j ; -- Begin function _Z20warp_exchange_kernelILj256ELj16ELj16EN6common18BlockedToStripedOpEoEvPT3_j
	.globl	_Z20warp_exchange_kernelILj256ELj16ELj16EN6common18BlockedToStripedOpEoEvPT3_j
	.p2align	8
	.type	_Z20warp_exchange_kernelILj256ELj16ELj16EN6common18BlockedToStripedOpEoEvPT3_j,@function
_Z20warp_exchange_kernelILj256ELj16ELj16EN6common18BlockedToStripedOpEoEvPT3_j: ; @_Z20warp_exchange_kernelILj256ELj16ELj16EN6common18BlockedToStripedOpEoEvPT3_j
; %bb.0:
	s_load_dword s0, s[4:5], 0x8
	v_lshlrev_b32_e32 v66, 4, v0
	v_or_b32_e32 v58, 1, v66
	v_or_b32_e32 v54, 2, v66
	;; [unrolled: 1-line block ×14, first 2 shown]
	s_waitcnt lgkmcnt(0)
	s_cmp_eq_u32 s0, 0
	v_or_b32_e32 v2, 15, v66
	s_cbranch_scc1 .LBB68_3
; %bb.1:
	v_mbcnt_lo_u32_b32 v1, -1, 0
	v_mbcnt_hi_u32_b32 v1, -1, v1
	v_and_b32_e32 v1, 15, v1
	v_mov_b32_e32 v3, 0
	v_lshlrev_b32_e32 v0, 8, v0
	v_lshlrev_b32_e32 v8, 8, v1
	s_mov_b32 s1, 0xf000
	v_pk_mov_b32 v[4:5], 0, 0
	v_mov_b32_e32 v67, v3
	v_and_or_b32 v0, v0, s1, v8
	v_mul_i32_i24_e32 v1, 0xffffff10, v1
	v_pk_mov_b32 v[64:65], 0, 0
	v_mov_b32_e32 v7, v3
	v_mov_b32_e32 v11, v3
	;; [unrolled: 1-line block ×14, first 2 shown]
	v_add_u32_e32 v1, v0, v1
	v_pk_mov_b32 v[8:9], v[4:5], v[4:5] op_sel:[0,1]
	v_pk_mov_b32 v[12:13], v[4:5], v[4:5] op_sel:[0,1]
	;; [unrolled: 1-line block ×15, first 2 shown]
.LBB68_2:                               ; =>This Inner Loop Header: Depth=1
	s_waitcnt lgkmcnt(14)
	ds_write_b128 v0, v[62:65]
	ds_write_b128 v0, v[58:61] offset:16
	s_waitcnt lgkmcnt(14)
	ds_write_b128 v0, v[54:57] offset:32
	ds_write_b128 v0, v[50:53] offset:48
	s_waitcnt lgkmcnt(14)
	ds_write_b128 v0, v[46:49] offset:64
	;; [unrolled: 3-line block ×7, first 2 shown]
	ds_write_b128 v0, v[2:5] offset:240
	; wave barrier
	ds_read_b128 v[62:65], v1
	ds_read_b128 v[58:61], v1 offset:256
	ds_read_b128 v[54:57], v1 offset:512
	;; [unrolled: 1-line block ×15, first 2 shown]
	s_add_i32 s0, s0, -1
	s_cmp_lg_u32 s0, 0
	; wave barrier
	s_cbranch_scc1 .LBB68_2
	s_branch .LBB68_4
.LBB68_3:
	v_mov_b32_e32 v67, 0
	v_pk_mov_b32 v[64:65], 0, 0
	v_pk_mov_b32 v[4:5], 0, 0
	v_mov_b32_e32 v59, v67
	v_mov_b32_e32 v55, v67
	;; [unrolled: 1-line block ×15, first 2 shown]
	v_pk_mov_b32 v[62:63], v[66:67], v[66:67] op_sel:[0,1]
	v_pk_mov_b32 v[60:61], v[64:65], v[64:65] op_sel:[0,1]
	;; [unrolled: 1-line block ×15, first 2 shown]
.LBB68_4:
	s_load_dwordx2 s[0:1], s[4:5], 0x0
	v_lshl_or_b32 v0, s6, 12, v66
	v_mov_b32_e32 v1, 0
	v_lshlrev_b64 v[0:1], 4, v[0:1]
	s_waitcnt lgkmcnt(0)
	v_mov_b32_e32 v66, s1
	v_add_co_u32_e32 v0, vcc, s0, v0
	v_addc_co_u32_e32 v1, vcc, v66, v1, vcc
	global_store_dwordx4 v[0:1], v[62:65], off
	global_store_dwordx4 v[0:1], v[58:61], off offset:16
	global_store_dwordx4 v[0:1], v[54:57], off offset:32
	;; [unrolled: 1-line block ×15, first 2 shown]
	s_endpgm
	.section	.rodata,"a",@progbits
	.p2align	6, 0x0
	.amdhsa_kernel _Z20warp_exchange_kernelILj256ELj16ELj16EN6common18BlockedToStripedOpEoEvPT3_j
		.amdhsa_group_segment_fixed_size 65536
		.amdhsa_private_segment_fixed_size 0
		.amdhsa_kernarg_size 12
		.amdhsa_user_sgpr_count 6
		.amdhsa_user_sgpr_private_segment_buffer 1
		.amdhsa_user_sgpr_dispatch_ptr 0
		.amdhsa_user_sgpr_queue_ptr 0
		.amdhsa_user_sgpr_kernarg_segment_ptr 1
		.amdhsa_user_sgpr_dispatch_id 0
		.amdhsa_user_sgpr_flat_scratch_init 0
		.amdhsa_user_sgpr_kernarg_preload_length 0
		.amdhsa_user_sgpr_kernarg_preload_offset 0
		.amdhsa_user_sgpr_private_segment_size 0
		.amdhsa_uses_dynamic_stack 0
		.amdhsa_system_sgpr_private_segment_wavefront_offset 0
		.amdhsa_system_sgpr_workgroup_id_x 1
		.amdhsa_system_sgpr_workgroup_id_y 0
		.amdhsa_system_sgpr_workgroup_id_z 0
		.amdhsa_system_sgpr_workgroup_info 0
		.amdhsa_system_vgpr_workitem_id 0
		.amdhsa_next_free_vgpr 68
		.amdhsa_next_free_sgpr 7
		.amdhsa_accum_offset 68
		.amdhsa_reserve_vcc 1
		.amdhsa_reserve_flat_scratch 0
		.amdhsa_float_round_mode_32 0
		.amdhsa_float_round_mode_16_64 0
		.amdhsa_float_denorm_mode_32 3
		.amdhsa_float_denorm_mode_16_64 3
		.amdhsa_dx10_clamp 1
		.amdhsa_ieee_mode 1
		.amdhsa_fp16_overflow 0
		.amdhsa_tg_split 0
		.amdhsa_exception_fp_ieee_invalid_op 0
		.amdhsa_exception_fp_denorm_src 0
		.amdhsa_exception_fp_ieee_div_zero 0
		.amdhsa_exception_fp_ieee_overflow 0
		.amdhsa_exception_fp_ieee_underflow 0
		.amdhsa_exception_fp_ieee_inexact 0
		.amdhsa_exception_int_div_zero 0
	.end_amdhsa_kernel
	.section	.text._Z20warp_exchange_kernelILj256ELj16ELj16EN6common18BlockedToStripedOpEoEvPT3_j,"axG",@progbits,_Z20warp_exchange_kernelILj256ELj16ELj16EN6common18BlockedToStripedOpEoEvPT3_j,comdat
.Lfunc_end68:
	.size	_Z20warp_exchange_kernelILj256ELj16ELj16EN6common18BlockedToStripedOpEoEvPT3_j, .Lfunc_end68-_Z20warp_exchange_kernelILj256ELj16ELj16EN6common18BlockedToStripedOpEoEvPT3_j
                                        ; -- End function
	.section	.AMDGPU.csdata,"",@progbits
; Kernel info:
; codeLenInByte = 1020
; NumSgprs: 11
; NumVgprs: 68
; NumAgprs: 0
; TotalNumVgprs: 68
; ScratchSize: 0
; MemoryBound: 1
; FloatMode: 240
; IeeeMode: 1
; LDSByteSize: 65536 bytes/workgroup (compile time only)
; SGPRBlocks: 1
; VGPRBlocks: 8
; NumSGPRsForWavesPerEU: 11
; NumVGPRsForWavesPerEU: 68
; AccumOffset: 68
; Occupancy: 1
; WaveLimiterHint : 1
; COMPUTE_PGM_RSRC2:SCRATCH_EN: 0
; COMPUTE_PGM_RSRC2:USER_SGPR: 6
; COMPUTE_PGM_RSRC2:TRAP_HANDLER: 0
; COMPUTE_PGM_RSRC2:TGID_X_EN: 1
; COMPUTE_PGM_RSRC2:TGID_Y_EN: 0
; COMPUTE_PGM_RSRC2:TGID_Z_EN: 0
; COMPUTE_PGM_RSRC2:TIDIG_COMP_CNT: 0
; COMPUTE_PGM_RSRC3_GFX90A:ACCUM_OFFSET: 16
; COMPUTE_PGM_RSRC3_GFX90A:TG_SPLIT: 0
	.section	.text._Z20warp_exchange_kernelILj256ELj16ELj32EN6common18BlockedToStripedOpEoEvPT3_j,"axG",@progbits,_Z20warp_exchange_kernelILj256ELj16ELj32EN6common18BlockedToStripedOpEoEvPT3_j,comdat
	.protected	_Z20warp_exchange_kernelILj256ELj16ELj32EN6common18BlockedToStripedOpEoEvPT3_j ; -- Begin function _Z20warp_exchange_kernelILj256ELj16ELj32EN6common18BlockedToStripedOpEoEvPT3_j
	.globl	_Z20warp_exchange_kernelILj256ELj16ELj32EN6common18BlockedToStripedOpEoEvPT3_j
	.p2align	8
	.type	_Z20warp_exchange_kernelILj256ELj16ELj32EN6common18BlockedToStripedOpEoEvPT3_j,@function
_Z20warp_exchange_kernelILj256ELj16ELj32EN6common18BlockedToStripedOpEoEvPT3_j: ; @_Z20warp_exchange_kernelILj256ELj16ELj32EN6common18BlockedToStripedOpEoEvPT3_j
; %bb.0:
	s_load_dword s0, s[4:5], 0x8
	v_lshlrev_b32_e32 v66, 4, v0
	v_or_b32_e32 v58, 1, v66
	v_or_b32_e32 v54, 2, v66
	;; [unrolled: 1-line block ×14, first 2 shown]
	s_waitcnt lgkmcnt(0)
	s_cmp_eq_u32 s0, 0
	v_or_b32_e32 v2, 15, v66
	s_cbranch_scc1 .LBB69_3
; %bb.1:
	v_mbcnt_lo_u32_b32 v1, -1, 0
	v_mbcnt_hi_u32_b32 v1, -1, v1
	v_and_b32_e32 v1, 31, v1
	v_mov_b32_e32 v3, 0
	v_lshlrev_b32_e32 v0, 8, v0
	v_lshlrev_b32_e32 v8, 8, v1
	s_mov_b32 s1, 0xe000
	v_pk_mov_b32 v[4:5], 0, 0
	v_mov_b32_e32 v67, v3
	v_and_or_b32 v0, v0, s1, v8
	v_mul_i32_i24_e32 v1, 0xffffff10, v1
	v_pk_mov_b32 v[64:65], 0, 0
	v_mov_b32_e32 v7, v3
	v_mov_b32_e32 v11, v3
	;; [unrolled: 1-line block ×14, first 2 shown]
	v_add_u32_e32 v1, v0, v1
	v_pk_mov_b32 v[8:9], v[4:5], v[4:5] op_sel:[0,1]
	v_pk_mov_b32 v[12:13], v[4:5], v[4:5] op_sel:[0,1]
	;; [unrolled: 1-line block ×15, first 2 shown]
.LBB69_2:                               ; =>This Inner Loop Header: Depth=1
	s_waitcnt lgkmcnt(14)
	ds_write_b128 v0, v[62:65]
	ds_write_b128 v0, v[58:61] offset:16
	s_waitcnt lgkmcnt(14)
	ds_write_b128 v0, v[54:57] offset:32
	ds_write_b128 v0, v[50:53] offset:48
	s_waitcnt lgkmcnt(14)
	ds_write_b128 v0, v[46:49] offset:64
	;; [unrolled: 3-line block ×7, first 2 shown]
	ds_write_b128 v0, v[2:5] offset:240
	; wave barrier
	ds_read_b128 v[62:65], v1
	ds_read_b128 v[58:61], v1 offset:512
	ds_read_b128 v[54:57], v1 offset:1024
	;; [unrolled: 1-line block ×15, first 2 shown]
	s_add_i32 s0, s0, -1
	s_cmp_lg_u32 s0, 0
	; wave barrier
	s_cbranch_scc1 .LBB69_2
	s_branch .LBB69_4
.LBB69_3:
	v_mov_b32_e32 v67, 0
	v_pk_mov_b32 v[64:65], 0, 0
	v_pk_mov_b32 v[4:5], 0, 0
	v_mov_b32_e32 v59, v67
	v_mov_b32_e32 v55, v67
	;; [unrolled: 1-line block ×15, first 2 shown]
	v_pk_mov_b32 v[62:63], v[66:67], v[66:67] op_sel:[0,1]
	v_pk_mov_b32 v[60:61], v[64:65], v[64:65] op_sel:[0,1]
	;; [unrolled: 1-line block ×15, first 2 shown]
.LBB69_4:
	s_load_dwordx2 s[0:1], s[4:5], 0x0
	v_lshl_or_b32 v0, s6, 12, v66
	v_mov_b32_e32 v1, 0
	v_lshlrev_b64 v[0:1], 4, v[0:1]
	s_waitcnt lgkmcnt(0)
	v_mov_b32_e32 v66, s1
	v_add_co_u32_e32 v0, vcc, s0, v0
	v_addc_co_u32_e32 v1, vcc, v66, v1, vcc
	global_store_dwordx4 v[0:1], v[62:65], off
	global_store_dwordx4 v[0:1], v[58:61], off offset:16
	global_store_dwordx4 v[0:1], v[54:57], off offset:32
	;; [unrolled: 1-line block ×15, first 2 shown]
	s_endpgm
	.section	.rodata,"a",@progbits
	.p2align	6, 0x0
	.amdhsa_kernel _Z20warp_exchange_kernelILj256ELj16ELj32EN6common18BlockedToStripedOpEoEvPT3_j
		.amdhsa_group_segment_fixed_size 65536
		.amdhsa_private_segment_fixed_size 0
		.amdhsa_kernarg_size 12
		.amdhsa_user_sgpr_count 6
		.amdhsa_user_sgpr_private_segment_buffer 1
		.amdhsa_user_sgpr_dispatch_ptr 0
		.amdhsa_user_sgpr_queue_ptr 0
		.amdhsa_user_sgpr_kernarg_segment_ptr 1
		.amdhsa_user_sgpr_dispatch_id 0
		.amdhsa_user_sgpr_flat_scratch_init 0
		.amdhsa_user_sgpr_kernarg_preload_length 0
		.amdhsa_user_sgpr_kernarg_preload_offset 0
		.amdhsa_user_sgpr_private_segment_size 0
		.amdhsa_uses_dynamic_stack 0
		.amdhsa_system_sgpr_private_segment_wavefront_offset 0
		.amdhsa_system_sgpr_workgroup_id_x 1
		.amdhsa_system_sgpr_workgroup_id_y 0
		.amdhsa_system_sgpr_workgroup_id_z 0
		.amdhsa_system_sgpr_workgroup_info 0
		.amdhsa_system_vgpr_workitem_id 0
		.amdhsa_next_free_vgpr 68
		.amdhsa_next_free_sgpr 7
		.amdhsa_accum_offset 68
		.amdhsa_reserve_vcc 1
		.amdhsa_reserve_flat_scratch 0
		.amdhsa_float_round_mode_32 0
		.amdhsa_float_round_mode_16_64 0
		.amdhsa_float_denorm_mode_32 3
		.amdhsa_float_denorm_mode_16_64 3
		.amdhsa_dx10_clamp 1
		.amdhsa_ieee_mode 1
		.amdhsa_fp16_overflow 0
		.amdhsa_tg_split 0
		.amdhsa_exception_fp_ieee_invalid_op 0
		.amdhsa_exception_fp_denorm_src 0
		.amdhsa_exception_fp_ieee_div_zero 0
		.amdhsa_exception_fp_ieee_overflow 0
		.amdhsa_exception_fp_ieee_underflow 0
		.amdhsa_exception_fp_ieee_inexact 0
		.amdhsa_exception_int_div_zero 0
	.end_amdhsa_kernel
	.section	.text._Z20warp_exchange_kernelILj256ELj16ELj32EN6common18BlockedToStripedOpEoEvPT3_j,"axG",@progbits,_Z20warp_exchange_kernelILj256ELj16ELj32EN6common18BlockedToStripedOpEoEvPT3_j,comdat
.Lfunc_end69:
	.size	_Z20warp_exchange_kernelILj256ELj16ELj32EN6common18BlockedToStripedOpEoEvPT3_j, .Lfunc_end69-_Z20warp_exchange_kernelILj256ELj16ELj32EN6common18BlockedToStripedOpEoEvPT3_j
                                        ; -- End function
	.section	.AMDGPU.csdata,"",@progbits
; Kernel info:
; codeLenInByte = 1020
; NumSgprs: 11
; NumVgprs: 68
; NumAgprs: 0
; TotalNumVgprs: 68
; ScratchSize: 0
; MemoryBound: 1
; FloatMode: 240
; IeeeMode: 1
; LDSByteSize: 65536 bytes/workgroup (compile time only)
; SGPRBlocks: 1
; VGPRBlocks: 8
; NumSGPRsForWavesPerEU: 11
; NumVGPRsForWavesPerEU: 68
; AccumOffset: 68
; Occupancy: 1
; WaveLimiterHint : 1
; COMPUTE_PGM_RSRC2:SCRATCH_EN: 0
; COMPUTE_PGM_RSRC2:USER_SGPR: 6
; COMPUTE_PGM_RSRC2:TRAP_HANDLER: 0
; COMPUTE_PGM_RSRC2:TGID_X_EN: 1
; COMPUTE_PGM_RSRC2:TGID_Y_EN: 0
; COMPUTE_PGM_RSRC2:TGID_Z_EN: 0
; COMPUTE_PGM_RSRC2:TIDIG_COMP_CNT: 0
; COMPUTE_PGM_RSRC3_GFX90A:ACCUM_OFFSET: 16
; COMPUTE_PGM_RSRC3_GFX90A:TG_SPLIT: 0
	.section	.text._Z20warp_exchange_kernelILj256ELj1ELj16EN6common18StripedToBlockedOpEoEvPT3_j,"axG",@progbits,_Z20warp_exchange_kernelILj256ELj1ELj16EN6common18StripedToBlockedOpEoEvPT3_j,comdat
	.protected	_Z20warp_exchange_kernelILj256ELj1ELj16EN6common18StripedToBlockedOpEoEvPT3_j ; -- Begin function _Z20warp_exchange_kernelILj256ELj1ELj16EN6common18StripedToBlockedOpEoEvPT3_j
	.globl	_Z20warp_exchange_kernelILj256ELj1ELj16EN6common18StripedToBlockedOpEoEvPT3_j
	.p2align	8
	.type	_Z20warp_exchange_kernelILj256ELj1ELj16EN6common18StripedToBlockedOpEoEvPT3_j,@function
_Z20warp_exchange_kernelILj256ELj1ELj16EN6common18StripedToBlockedOpEoEvPT3_j: ; @_Z20warp_exchange_kernelILj256ELj1ELj16EN6common18StripedToBlockedOpEoEvPT3_j
; %bb.0:
	s_load_dword s0, s[4:5], 0x8
	v_mov_b32_e32 v1, 0
	v_pk_mov_b32 v[4:5], 0, 0
	s_waitcnt lgkmcnt(0)
	s_cmp_eq_u32 s0, 0
	s_cbranch_scc1 .LBB70_3
; %bb.1:
	v_mbcnt_lo_u32_b32 v3, -1, 0
	v_mbcnt_hi_u32_b32 v3, -1, v3
	v_and_b32_e32 v3, 15, v3
	v_lshlrev_b32_e32 v2, 4, v0
	v_lshlrev_b32_e32 v3, 4, v3
	s_movk_i32 s1, 0xf00
	v_and_or_b32 v6, v2, s1, v3
	v_pk_mov_b32 v[2:3], v[0:1], v[0:1] op_sel:[0,1]
.LBB70_2:                               ; =>This Inner Loop Header: Depth=1
	s_waitcnt lgkmcnt(0)
	ds_write_b128 v6, v[2:5]
	; wave barrier
	ds_read_b128 v[2:5], v6
	s_add_i32 s0, s0, -1
	s_cmp_lg_u32 s0, 0
	; wave barrier
	s_cbranch_scc1 .LBB70_2
	s_branch .LBB70_4
.LBB70_3:
	v_pk_mov_b32 v[2:3], v[0:1], v[0:1] op_sel:[0,1]
.LBB70_4:
	s_load_dwordx2 s[0:1], s[4:5], 0x0
	v_lshl_or_b32 v0, s6, 8, v0
	v_mov_b32_e32 v1, 0
	v_lshlrev_b64 v[0:1], 4, v[0:1]
	s_waitcnt lgkmcnt(0)
	v_mov_b32_e32 v6, s1
	v_add_co_u32_e32 v0, vcc, s0, v0
	v_addc_co_u32_e32 v1, vcc, v6, v1, vcc
	global_store_dwordx4 v[0:1], v[2:5], off
	s_endpgm
	.section	.rodata,"a",@progbits
	.p2align	6, 0x0
	.amdhsa_kernel _Z20warp_exchange_kernelILj256ELj1ELj16EN6common18StripedToBlockedOpEoEvPT3_j
		.amdhsa_group_segment_fixed_size 4096
		.amdhsa_private_segment_fixed_size 0
		.amdhsa_kernarg_size 12
		.amdhsa_user_sgpr_count 6
		.amdhsa_user_sgpr_private_segment_buffer 1
		.amdhsa_user_sgpr_dispatch_ptr 0
		.amdhsa_user_sgpr_queue_ptr 0
		.amdhsa_user_sgpr_kernarg_segment_ptr 1
		.amdhsa_user_sgpr_dispatch_id 0
		.amdhsa_user_sgpr_flat_scratch_init 0
		.amdhsa_user_sgpr_kernarg_preload_length 0
		.amdhsa_user_sgpr_kernarg_preload_offset 0
		.amdhsa_user_sgpr_private_segment_size 0
		.amdhsa_uses_dynamic_stack 0
		.amdhsa_system_sgpr_private_segment_wavefront_offset 0
		.amdhsa_system_sgpr_workgroup_id_x 1
		.amdhsa_system_sgpr_workgroup_id_y 0
		.amdhsa_system_sgpr_workgroup_id_z 0
		.amdhsa_system_sgpr_workgroup_info 0
		.amdhsa_system_vgpr_workitem_id 0
		.amdhsa_next_free_vgpr 7
		.amdhsa_next_free_sgpr 7
		.amdhsa_accum_offset 8
		.amdhsa_reserve_vcc 1
		.amdhsa_reserve_flat_scratch 0
		.amdhsa_float_round_mode_32 0
		.amdhsa_float_round_mode_16_64 0
		.amdhsa_float_denorm_mode_32 3
		.amdhsa_float_denorm_mode_16_64 3
		.amdhsa_dx10_clamp 1
		.amdhsa_ieee_mode 1
		.amdhsa_fp16_overflow 0
		.amdhsa_tg_split 0
		.amdhsa_exception_fp_ieee_invalid_op 0
		.amdhsa_exception_fp_denorm_src 0
		.amdhsa_exception_fp_ieee_div_zero 0
		.amdhsa_exception_fp_ieee_overflow 0
		.amdhsa_exception_fp_ieee_underflow 0
		.amdhsa_exception_fp_ieee_inexact 0
		.amdhsa_exception_int_div_zero 0
	.end_amdhsa_kernel
	.section	.text._Z20warp_exchange_kernelILj256ELj1ELj16EN6common18StripedToBlockedOpEoEvPT3_j,"axG",@progbits,_Z20warp_exchange_kernelILj256ELj1ELj16EN6common18StripedToBlockedOpEoEvPT3_j,comdat
.Lfunc_end70:
	.size	_Z20warp_exchange_kernelILj256ELj1ELj16EN6common18StripedToBlockedOpEoEvPT3_j, .Lfunc_end70-_Z20warp_exchange_kernelILj256ELj1ELj16EN6common18StripedToBlockedOpEoEvPT3_j
                                        ; -- End function
	.section	.AMDGPU.csdata,"",@progbits
; Kernel info:
; codeLenInByte = 180
; NumSgprs: 11
; NumVgprs: 7
; NumAgprs: 0
; TotalNumVgprs: 7
; ScratchSize: 0
; MemoryBound: 0
; FloatMode: 240
; IeeeMode: 1
; LDSByteSize: 4096 bytes/workgroup (compile time only)
; SGPRBlocks: 1
; VGPRBlocks: 0
; NumSGPRsForWavesPerEU: 11
; NumVGPRsForWavesPerEU: 7
; AccumOffset: 8
; Occupancy: 8
; WaveLimiterHint : 0
; COMPUTE_PGM_RSRC2:SCRATCH_EN: 0
; COMPUTE_PGM_RSRC2:USER_SGPR: 6
; COMPUTE_PGM_RSRC2:TRAP_HANDLER: 0
; COMPUTE_PGM_RSRC2:TGID_X_EN: 1
; COMPUTE_PGM_RSRC2:TGID_Y_EN: 0
; COMPUTE_PGM_RSRC2:TGID_Z_EN: 0
; COMPUTE_PGM_RSRC2:TIDIG_COMP_CNT: 0
; COMPUTE_PGM_RSRC3_GFX90A:ACCUM_OFFSET: 1
; COMPUTE_PGM_RSRC3_GFX90A:TG_SPLIT: 0
	.section	.text._Z20warp_exchange_kernelILj256ELj1ELj32EN6common18StripedToBlockedOpEoEvPT3_j,"axG",@progbits,_Z20warp_exchange_kernelILj256ELj1ELj32EN6common18StripedToBlockedOpEoEvPT3_j,comdat
	.protected	_Z20warp_exchange_kernelILj256ELj1ELj32EN6common18StripedToBlockedOpEoEvPT3_j ; -- Begin function _Z20warp_exchange_kernelILj256ELj1ELj32EN6common18StripedToBlockedOpEoEvPT3_j
	.globl	_Z20warp_exchange_kernelILj256ELj1ELj32EN6common18StripedToBlockedOpEoEvPT3_j
	.p2align	8
	.type	_Z20warp_exchange_kernelILj256ELj1ELj32EN6common18StripedToBlockedOpEoEvPT3_j,@function
_Z20warp_exchange_kernelILj256ELj1ELj32EN6common18StripedToBlockedOpEoEvPT3_j: ; @_Z20warp_exchange_kernelILj256ELj1ELj32EN6common18StripedToBlockedOpEoEvPT3_j
; %bb.0:
	s_load_dword s0, s[4:5], 0x8
	v_mov_b32_e32 v1, 0
	v_pk_mov_b32 v[4:5], 0, 0
	s_waitcnt lgkmcnt(0)
	s_cmp_eq_u32 s0, 0
	s_cbranch_scc1 .LBB71_3
; %bb.1:
	v_mbcnt_lo_u32_b32 v3, -1, 0
	v_mbcnt_hi_u32_b32 v3, -1, v3
	v_and_b32_e32 v3, 31, v3
	v_lshlrev_b32_e32 v2, 4, v0
	v_lshlrev_b32_e32 v3, 4, v3
	s_movk_i32 s1, 0xe00
	v_and_or_b32 v6, v2, s1, v3
	v_pk_mov_b32 v[2:3], v[0:1], v[0:1] op_sel:[0,1]
.LBB71_2:                               ; =>This Inner Loop Header: Depth=1
	s_waitcnt lgkmcnt(0)
	ds_write_b128 v6, v[2:5]
	; wave barrier
	ds_read_b128 v[2:5], v6
	s_add_i32 s0, s0, -1
	s_cmp_lg_u32 s0, 0
	; wave barrier
	s_cbranch_scc1 .LBB71_2
	s_branch .LBB71_4
.LBB71_3:
	v_pk_mov_b32 v[2:3], v[0:1], v[0:1] op_sel:[0,1]
.LBB71_4:
	s_load_dwordx2 s[0:1], s[4:5], 0x0
	v_lshl_or_b32 v0, s6, 8, v0
	v_mov_b32_e32 v1, 0
	v_lshlrev_b64 v[0:1], 4, v[0:1]
	s_waitcnt lgkmcnt(0)
	v_mov_b32_e32 v6, s1
	v_add_co_u32_e32 v0, vcc, s0, v0
	v_addc_co_u32_e32 v1, vcc, v6, v1, vcc
	global_store_dwordx4 v[0:1], v[2:5], off
	s_endpgm
	.section	.rodata,"a",@progbits
	.p2align	6, 0x0
	.amdhsa_kernel _Z20warp_exchange_kernelILj256ELj1ELj32EN6common18StripedToBlockedOpEoEvPT3_j
		.amdhsa_group_segment_fixed_size 4096
		.amdhsa_private_segment_fixed_size 0
		.amdhsa_kernarg_size 12
		.amdhsa_user_sgpr_count 6
		.amdhsa_user_sgpr_private_segment_buffer 1
		.amdhsa_user_sgpr_dispatch_ptr 0
		.amdhsa_user_sgpr_queue_ptr 0
		.amdhsa_user_sgpr_kernarg_segment_ptr 1
		.amdhsa_user_sgpr_dispatch_id 0
		.amdhsa_user_sgpr_flat_scratch_init 0
		.amdhsa_user_sgpr_kernarg_preload_length 0
		.amdhsa_user_sgpr_kernarg_preload_offset 0
		.amdhsa_user_sgpr_private_segment_size 0
		.amdhsa_uses_dynamic_stack 0
		.amdhsa_system_sgpr_private_segment_wavefront_offset 0
		.amdhsa_system_sgpr_workgroup_id_x 1
		.amdhsa_system_sgpr_workgroup_id_y 0
		.amdhsa_system_sgpr_workgroup_id_z 0
		.amdhsa_system_sgpr_workgroup_info 0
		.amdhsa_system_vgpr_workitem_id 0
		.amdhsa_next_free_vgpr 7
		.amdhsa_next_free_sgpr 7
		.amdhsa_accum_offset 8
		.amdhsa_reserve_vcc 1
		.amdhsa_reserve_flat_scratch 0
		.amdhsa_float_round_mode_32 0
		.amdhsa_float_round_mode_16_64 0
		.amdhsa_float_denorm_mode_32 3
		.amdhsa_float_denorm_mode_16_64 3
		.amdhsa_dx10_clamp 1
		.amdhsa_ieee_mode 1
		.amdhsa_fp16_overflow 0
		.amdhsa_tg_split 0
		.amdhsa_exception_fp_ieee_invalid_op 0
		.amdhsa_exception_fp_denorm_src 0
		.amdhsa_exception_fp_ieee_div_zero 0
		.amdhsa_exception_fp_ieee_overflow 0
		.amdhsa_exception_fp_ieee_underflow 0
		.amdhsa_exception_fp_ieee_inexact 0
		.amdhsa_exception_int_div_zero 0
	.end_amdhsa_kernel
	.section	.text._Z20warp_exchange_kernelILj256ELj1ELj32EN6common18StripedToBlockedOpEoEvPT3_j,"axG",@progbits,_Z20warp_exchange_kernelILj256ELj1ELj32EN6common18StripedToBlockedOpEoEvPT3_j,comdat
.Lfunc_end71:
	.size	_Z20warp_exchange_kernelILj256ELj1ELj32EN6common18StripedToBlockedOpEoEvPT3_j, .Lfunc_end71-_Z20warp_exchange_kernelILj256ELj1ELj32EN6common18StripedToBlockedOpEoEvPT3_j
                                        ; -- End function
	.section	.AMDGPU.csdata,"",@progbits
; Kernel info:
; codeLenInByte = 180
; NumSgprs: 11
; NumVgprs: 7
; NumAgprs: 0
; TotalNumVgprs: 7
; ScratchSize: 0
; MemoryBound: 0
; FloatMode: 240
; IeeeMode: 1
; LDSByteSize: 4096 bytes/workgroup (compile time only)
; SGPRBlocks: 1
; VGPRBlocks: 0
; NumSGPRsForWavesPerEU: 11
; NumVGPRsForWavesPerEU: 7
; AccumOffset: 8
; Occupancy: 8
; WaveLimiterHint : 0
; COMPUTE_PGM_RSRC2:SCRATCH_EN: 0
; COMPUTE_PGM_RSRC2:USER_SGPR: 6
; COMPUTE_PGM_RSRC2:TRAP_HANDLER: 0
; COMPUTE_PGM_RSRC2:TGID_X_EN: 1
; COMPUTE_PGM_RSRC2:TGID_Y_EN: 0
; COMPUTE_PGM_RSRC2:TGID_Z_EN: 0
; COMPUTE_PGM_RSRC2:TIDIG_COMP_CNT: 0
; COMPUTE_PGM_RSRC3_GFX90A:ACCUM_OFFSET: 1
; COMPUTE_PGM_RSRC3_GFX90A:TG_SPLIT: 0
	.section	.text._Z20warp_exchange_kernelILj256ELj4ELj16EN6common18StripedToBlockedOpEoEvPT3_j,"axG",@progbits,_Z20warp_exchange_kernelILj256ELj4ELj16EN6common18StripedToBlockedOpEoEvPT3_j,comdat
	.protected	_Z20warp_exchange_kernelILj256ELj4ELj16EN6common18StripedToBlockedOpEoEvPT3_j ; -- Begin function _Z20warp_exchange_kernelILj256ELj4ELj16EN6common18StripedToBlockedOpEoEvPT3_j
	.globl	_Z20warp_exchange_kernelILj256ELj4ELj16EN6common18StripedToBlockedOpEoEvPT3_j
	.p2align	8
	.type	_Z20warp_exchange_kernelILj256ELj4ELj16EN6common18StripedToBlockedOpEoEvPT3_j,@function
_Z20warp_exchange_kernelILj256ELj4ELj16EN6common18StripedToBlockedOpEoEvPT3_j: ; @_Z20warp_exchange_kernelILj256ELj4ELj16EN6common18StripedToBlockedOpEoEvPT3_j
; %bb.0:
	s_load_dword s0, s[4:5], 0x8
	v_lshlrev_b32_e32 v18, 2, v0
	v_or_b32_e32 v10, 1, v18
	v_or_b32_e32 v6, 2, v18
	;; [unrolled: 1-line block ×3, first 2 shown]
	s_waitcnt lgkmcnt(0)
	s_cmp_eq_u32 s0, 0
	s_cbranch_scc1 .LBB72_3
; %bb.1:
	v_mbcnt_lo_u32_b32 v1, -1, 0
	v_mbcnt_hi_u32_b32 v1, -1, v1
	v_and_b32_e32 v1, 15, v1
	v_mov_b32_e32 v3, 0
	v_lshlrev_b32_e32 v0, 6, v0
	v_lshlrev_b32_e32 v8, 4, v1
	s_movk_i32 s1, 0x3c00
	v_pk_mov_b32 v[4:5], 0, 0
	v_mov_b32_e32 v19, v3
	v_and_or_b32 v0, v0, s1, v8
	v_mul_u32_u24_e32 v1, 48, v1
	v_pk_mov_b32 v[16:17], 0, 0
	v_mov_b32_e32 v7, v3
	v_mov_b32_e32 v11, v3
	v_add_u32_e32 v1, v0, v1
	v_pk_mov_b32 v[8:9], v[4:5], v[4:5] op_sel:[0,1]
	v_pk_mov_b32 v[12:13], v[4:5], v[4:5] op_sel:[0,1]
	;; [unrolled: 1-line block ×3, first 2 shown]
.LBB72_2:                               ; =>This Inner Loop Header: Depth=1
	s_waitcnt lgkmcnt(3)
	ds_write_b128 v0, v[14:17]
	s_waitcnt lgkmcnt(3)
	ds_write_b128 v0, v[10:13] offset:256
	s_waitcnt lgkmcnt(3)
	ds_write_b128 v0, v[6:9] offset:512
	;; [unrolled: 2-line block ×3, first 2 shown]
	; wave barrier
	ds_read_b128 v[14:17], v1
	ds_read_b128 v[10:13], v1 offset:16
	ds_read_b128 v[6:9], v1 offset:32
	;; [unrolled: 1-line block ×3, first 2 shown]
	s_add_i32 s0, s0, -1
	s_cmp_lg_u32 s0, 0
	; wave barrier
	s_cbranch_scc1 .LBB72_2
	s_branch .LBB72_4
.LBB72_3:
	v_mov_b32_e32 v19, 0
	v_pk_mov_b32 v[16:17], 0, 0
	v_pk_mov_b32 v[4:5], 0, 0
	v_mov_b32_e32 v11, v19
	v_mov_b32_e32 v7, v19
	;; [unrolled: 1-line block ×3, first 2 shown]
	v_pk_mov_b32 v[14:15], v[18:19], v[18:19] op_sel:[0,1]
	v_pk_mov_b32 v[12:13], v[16:17], v[16:17] op_sel:[0,1]
	;; [unrolled: 1-line block ×3, first 2 shown]
.LBB72_4:
	s_load_dwordx2 s[0:1], s[4:5], 0x0
	v_lshl_or_b32 v0, s6, 10, v18
	v_mov_b32_e32 v1, 0
	v_lshlrev_b64 v[0:1], 4, v[0:1]
	s_waitcnt lgkmcnt(0)
	v_mov_b32_e32 v18, s1
	v_add_co_u32_e32 v0, vcc, s0, v0
	v_addc_co_u32_e32 v1, vcc, v18, v1, vcc
	global_store_dwordx4 v[0:1], v[14:17], off
	global_store_dwordx4 v[0:1], v[10:13], off offset:16
	global_store_dwordx4 v[0:1], v[6:9], off offset:32
	;; [unrolled: 1-line block ×3, first 2 shown]
	s_endpgm
	.section	.rodata,"a",@progbits
	.p2align	6, 0x0
	.amdhsa_kernel _Z20warp_exchange_kernelILj256ELj4ELj16EN6common18StripedToBlockedOpEoEvPT3_j
		.amdhsa_group_segment_fixed_size 16384
		.amdhsa_private_segment_fixed_size 0
		.amdhsa_kernarg_size 12
		.amdhsa_user_sgpr_count 6
		.amdhsa_user_sgpr_private_segment_buffer 1
		.amdhsa_user_sgpr_dispatch_ptr 0
		.amdhsa_user_sgpr_queue_ptr 0
		.amdhsa_user_sgpr_kernarg_segment_ptr 1
		.amdhsa_user_sgpr_dispatch_id 0
		.amdhsa_user_sgpr_flat_scratch_init 0
		.amdhsa_user_sgpr_kernarg_preload_length 0
		.amdhsa_user_sgpr_kernarg_preload_offset 0
		.amdhsa_user_sgpr_private_segment_size 0
		.amdhsa_uses_dynamic_stack 0
		.amdhsa_system_sgpr_private_segment_wavefront_offset 0
		.amdhsa_system_sgpr_workgroup_id_x 1
		.amdhsa_system_sgpr_workgroup_id_y 0
		.amdhsa_system_sgpr_workgroup_id_z 0
		.amdhsa_system_sgpr_workgroup_info 0
		.amdhsa_system_vgpr_workitem_id 0
		.amdhsa_next_free_vgpr 20
		.amdhsa_next_free_sgpr 7
		.amdhsa_accum_offset 20
		.amdhsa_reserve_vcc 1
		.amdhsa_reserve_flat_scratch 0
		.amdhsa_float_round_mode_32 0
		.amdhsa_float_round_mode_16_64 0
		.amdhsa_float_denorm_mode_32 3
		.amdhsa_float_denorm_mode_16_64 3
		.amdhsa_dx10_clamp 1
		.amdhsa_ieee_mode 1
		.amdhsa_fp16_overflow 0
		.amdhsa_tg_split 0
		.amdhsa_exception_fp_ieee_invalid_op 0
		.amdhsa_exception_fp_denorm_src 0
		.amdhsa_exception_fp_ieee_div_zero 0
		.amdhsa_exception_fp_ieee_overflow 0
		.amdhsa_exception_fp_ieee_underflow 0
		.amdhsa_exception_fp_ieee_inexact 0
		.amdhsa_exception_int_div_zero 0
	.end_amdhsa_kernel
	.section	.text._Z20warp_exchange_kernelILj256ELj4ELj16EN6common18StripedToBlockedOpEoEvPT3_j,"axG",@progbits,_Z20warp_exchange_kernelILj256ELj4ELj16EN6common18StripedToBlockedOpEoEvPT3_j,comdat
.Lfunc_end72:
	.size	_Z20warp_exchange_kernelILj256ELj4ELj16EN6common18StripedToBlockedOpEoEvPT3_j, .Lfunc_end72-_Z20warp_exchange_kernelILj256ELj4ELj16EN6common18StripedToBlockedOpEoEvPT3_j
                                        ; -- End function
	.section	.AMDGPU.csdata,"",@progbits
; Kernel info:
; codeLenInByte = 372
; NumSgprs: 11
; NumVgprs: 20
; NumAgprs: 0
; TotalNumVgprs: 20
; ScratchSize: 0
; MemoryBound: 0
; FloatMode: 240
; IeeeMode: 1
; LDSByteSize: 16384 bytes/workgroup (compile time only)
; SGPRBlocks: 1
; VGPRBlocks: 2
; NumSGPRsForWavesPerEU: 11
; NumVGPRsForWavesPerEU: 20
; AccumOffset: 20
; Occupancy: 4
; WaveLimiterHint : 0
; COMPUTE_PGM_RSRC2:SCRATCH_EN: 0
; COMPUTE_PGM_RSRC2:USER_SGPR: 6
; COMPUTE_PGM_RSRC2:TRAP_HANDLER: 0
; COMPUTE_PGM_RSRC2:TGID_X_EN: 1
; COMPUTE_PGM_RSRC2:TGID_Y_EN: 0
; COMPUTE_PGM_RSRC2:TGID_Z_EN: 0
; COMPUTE_PGM_RSRC2:TIDIG_COMP_CNT: 0
; COMPUTE_PGM_RSRC3_GFX90A:ACCUM_OFFSET: 4
; COMPUTE_PGM_RSRC3_GFX90A:TG_SPLIT: 0
	.section	.text._Z20warp_exchange_kernelILj256ELj4ELj32EN6common18StripedToBlockedOpEoEvPT3_j,"axG",@progbits,_Z20warp_exchange_kernelILj256ELj4ELj32EN6common18StripedToBlockedOpEoEvPT3_j,comdat
	.protected	_Z20warp_exchange_kernelILj256ELj4ELj32EN6common18StripedToBlockedOpEoEvPT3_j ; -- Begin function _Z20warp_exchange_kernelILj256ELj4ELj32EN6common18StripedToBlockedOpEoEvPT3_j
	.globl	_Z20warp_exchange_kernelILj256ELj4ELj32EN6common18StripedToBlockedOpEoEvPT3_j
	.p2align	8
	.type	_Z20warp_exchange_kernelILj256ELj4ELj32EN6common18StripedToBlockedOpEoEvPT3_j,@function
_Z20warp_exchange_kernelILj256ELj4ELj32EN6common18StripedToBlockedOpEoEvPT3_j: ; @_Z20warp_exchange_kernelILj256ELj4ELj32EN6common18StripedToBlockedOpEoEvPT3_j
; %bb.0:
	s_load_dword s0, s[4:5], 0x8
	v_lshlrev_b32_e32 v18, 2, v0
	v_or_b32_e32 v10, 1, v18
	v_or_b32_e32 v6, 2, v18
	;; [unrolled: 1-line block ×3, first 2 shown]
	s_waitcnt lgkmcnt(0)
	s_cmp_eq_u32 s0, 0
	s_cbranch_scc1 .LBB73_3
; %bb.1:
	v_mbcnt_lo_u32_b32 v1, -1, 0
	v_mbcnt_hi_u32_b32 v1, -1, v1
	v_and_b32_e32 v1, 31, v1
	v_mov_b32_e32 v3, 0
	v_lshlrev_b32_e32 v0, 6, v0
	v_lshlrev_b32_e32 v8, 4, v1
	s_movk_i32 s1, 0x3800
	v_pk_mov_b32 v[4:5], 0, 0
	v_mov_b32_e32 v19, v3
	v_and_or_b32 v0, v0, s1, v8
	v_mul_u32_u24_e32 v1, 48, v1
	v_pk_mov_b32 v[16:17], 0, 0
	v_mov_b32_e32 v7, v3
	v_mov_b32_e32 v11, v3
	v_add_u32_e32 v1, v0, v1
	v_pk_mov_b32 v[8:9], v[4:5], v[4:5] op_sel:[0,1]
	v_pk_mov_b32 v[12:13], v[4:5], v[4:5] op_sel:[0,1]
	;; [unrolled: 1-line block ×3, first 2 shown]
.LBB73_2:                               ; =>This Inner Loop Header: Depth=1
	s_waitcnt lgkmcnt(3)
	ds_write_b128 v0, v[14:17]
	s_waitcnt lgkmcnt(3)
	ds_write_b128 v0, v[10:13] offset:512
	s_waitcnt lgkmcnt(3)
	ds_write_b128 v0, v[6:9] offset:1024
	;; [unrolled: 2-line block ×3, first 2 shown]
	; wave barrier
	ds_read_b128 v[14:17], v1
	ds_read_b128 v[10:13], v1 offset:16
	ds_read_b128 v[6:9], v1 offset:32
	;; [unrolled: 1-line block ×3, first 2 shown]
	s_add_i32 s0, s0, -1
	s_cmp_lg_u32 s0, 0
	; wave barrier
	s_cbranch_scc1 .LBB73_2
	s_branch .LBB73_4
.LBB73_3:
	v_mov_b32_e32 v19, 0
	v_pk_mov_b32 v[16:17], 0, 0
	v_pk_mov_b32 v[4:5], 0, 0
	v_mov_b32_e32 v11, v19
	v_mov_b32_e32 v7, v19
	;; [unrolled: 1-line block ×3, first 2 shown]
	v_pk_mov_b32 v[14:15], v[18:19], v[18:19] op_sel:[0,1]
	v_pk_mov_b32 v[12:13], v[16:17], v[16:17] op_sel:[0,1]
	;; [unrolled: 1-line block ×3, first 2 shown]
.LBB73_4:
	s_load_dwordx2 s[0:1], s[4:5], 0x0
	v_lshl_or_b32 v0, s6, 10, v18
	v_mov_b32_e32 v1, 0
	v_lshlrev_b64 v[0:1], 4, v[0:1]
	s_waitcnt lgkmcnt(0)
	v_mov_b32_e32 v18, s1
	v_add_co_u32_e32 v0, vcc, s0, v0
	v_addc_co_u32_e32 v1, vcc, v18, v1, vcc
	global_store_dwordx4 v[0:1], v[14:17], off
	global_store_dwordx4 v[0:1], v[10:13], off offset:16
	global_store_dwordx4 v[0:1], v[6:9], off offset:32
	;; [unrolled: 1-line block ×3, first 2 shown]
	s_endpgm
	.section	.rodata,"a",@progbits
	.p2align	6, 0x0
	.amdhsa_kernel _Z20warp_exchange_kernelILj256ELj4ELj32EN6common18StripedToBlockedOpEoEvPT3_j
		.amdhsa_group_segment_fixed_size 16384
		.amdhsa_private_segment_fixed_size 0
		.amdhsa_kernarg_size 12
		.amdhsa_user_sgpr_count 6
		.amdhsa_user_sgpr_private_segment_buffer 1
		.amdhsa_user_sgpr_dispatch_ptr 0
		.amdhsa_user_sgpr_queue_ptr 0
		.amdhsa_user_sgpr_kernarg_segment_ptr 1
		.amdhsa_user_sgpr_dispatch_id 0
		.amdhsa_user_sgpr_flat_scratch_init 0
		.amdhsa_user_sgpr_kernarg_preload_length 0
		.amdhsa_user_sgpr_kernarg_preload_offset 0
		.amdhsa_user_sgpr_private_segment_size 0
		.amdhsa_uses_dynamic_stack 0
		.amdhsa_system_sgpr_private_segment_wavefront_offset 0
		.amdhsa_system_sgpr_workgroup_id_x 1
		.amdhsa_system_sgpr_workgroup_id_y 0
		.amdhsa_system_sgpr_workgroup_id_z 0
		.amdhsa_system_sgpr_workgroup_info 0
		.amdhsa_system_vgpr_workitem_id 0
		.amdhsa_next_free_vgpr 20
		.amdhsa_next_free_sgpr 7
		.amdhsa_accum_offset 20
		.amdhsa_reserve_vcc 1
		.amdhsa_reserve_flat_scratch 0
		.amdhsa_float_round_mode_32 0
		.amdhsa_float_round_mode_16_64 0
		.amdhsa_float_denorm_mode_32 3
		.amdhsa_float_denorm_mode_16_64 3
		.amdhsa_dx10_clamp 1
		.amdhsa_ieee_mode 1
		.amdhsa_fp16_overflow 0
		.amdhsa_tg_split 0
		.amdhsa_exception_fp_ieee_invalid_op 0
		.amdhsa_exception_fp_denorm_src 0
		.amdhsa_exception_fp_ieee_div_zero 0
		.amdhsa_exception_fp_ieee_overflow 0
		.amdhsa_exception_fp_ieee_underflow 0
		.amdhsa_exception_fp_ieee_inexact 0
		.amdhsa_exception_int_div_zero 0
	.end_amdhsa_kernel
	.section	.text._Z20warp_exchange_kernelILj256ELj4ELj32EN6common18StripedToBlockedOpEoEvPT3_j,"axG",@progbits,_Z20warp_exchange_kernelILj256ELj4ELj32EN6common18StripedToBlockedOpEoEvPT3_j,comdat
.Lfunc_end73:
	.size	_Z20warp_exchange_kernelILj256ELj4ELj32EN6common18StripedToBlockedOpEoEvPT3_j, .Lfunc_end73-_Z20warp_exchange_kernelILj256ELj4ELj32EN6common18StripedToBlockedOpEoEvPT3_j
                                        ; -- End function
	.section	.AMDGPU.csdata,"",@progbits
; Kernel info:
; codeLenInByte = 372
; NumSgprs: 11
; NumVgprs: 20
; NumAgprs: 0
; TotalNumVgprs: 20
; ScratchSize: 0
; MemoryBound: 0
; FloatMode: 240
; IeeeMode: 1
; LDSByteSize: 16384 bytes/workgroup (compile time only)
; SGPRBlocks: 1
; VGPRBlocks: 2
; NumSGPRsForWavesPerEU: 11
; NumVGPRsForWavesPerEU: 20
; AccumOffset: 20
; Occupancy: 4
; WaveLimiterHint : 0
; COMPUTE_PGM_RSRC2:SCRATCH_EN: 0
; COMPUTE_PGM_RSRC2:USER_SGPR: 6
; COMPUTE_PGM_RSRC2:TRAP_HANDLER: 0
; COMPUTE_PGM_RSRC2:TGID_X_EN: 1
; COMPUTE_PGM_RSRC2:TGID_Y_EN: 0
; COMPUTE_PGM_RSRC2:TGID_Z_EN: 0
; COMPUTE_PGM_RSRC2:TIDIG_COMP_CNT: 0
; COMPUTE_PGM_RSRC3_GFX90A:ACCUM_OFFSET: 4
; COMPUTE_PGM_RSRC3_GFX90A:TG_SPLIT: 0
	.section	.text._Z20warp_exchange_kernelILj256ELj16ELj16EN6common18StripedToBlockedOpEoEvPT3_j,"axG",@progbits,_Z20warp_exchange_kernelILj256ELj16ELj16EN6common18StripedToBlockedOpEoEvPT3_j,comdat
	.protected	_Z20warp_exchange_kernelILj256ELj16ELj16EN6common18StripedToBlockedOpEoEvPT3_j ; -- Begin function _Z20warp_exchange_kernelILj256ELj16ELj16EN6common18StripedToBlockedOpEoEvPT3_j
	.globl	_Z20warp_exchange_kernelILj256ELj16ELj16EN6common18StripedToBlockedOpEoEvPT3_j
	.p2align	8
	.type	_Z20warp_exchange_kernelILj256ELj16ELj16EN6common18StripedToBlockedOpEoEvPT3_j,@function
_Z20warp_exchange_kernelILj256ELj16ELj16EN6common18StripedToBlockedOpEoEvPT3_j: ; @_Z20warp_exchange_kernelILj256ELj16ELj16EN6common18StripedToBlockedOpEoEvPT3_j
; %bb.0:
	s_load_dword s0, s[4:5], 0x8
	v_lshlrev_b32_e32 v66, 4, v0
	v_or_b32_e32 v58, 1, v66
	v_or_b32_e32 v46, 2, v66
	;; [unrolled: 1-line block ×14, first 2 shown]
	s_waitcnt lgkmcnt(0)
	s_cmp_eq_u32 s0, 0
	v_or_b32_e32 v2, 15, v66
	s_cbranch_scc1 .LBB74_3
; %bb.1:
	v_mbcnt_lo_u32_b32 v1, -1, 0
	v_mbcnt_hi_u32_b32 v1, -1, v1
	v_and_b32_e32 v1, 15, v1
	v_mov_b32_e32 v3, 0
	v_lshlrev_b32_e32 v0, 8, v0
	v_lshlrev_b32_e32 v8, 4, v1
	s_mov_b32 s1, 0xf000
	v_pk_mov_b32 v[4:5], 0, 0
	v_mov_b32_e32 v67, v3
	v_and_or_b32 v0, v0, s1, v8
	v_mul_u32_u24_e32 v1, 0xf0, v1
	v_pk_mov_b32 v[64:65], 0, 0
	v_mov_b32_e32 v7, v3
	v_mov_b32_e32 v11, v3
	;; [unrolled: 1-line block ×14, first 2 shown]
	v_add_u32_e32 v1, v0, v1
	v_pk_mov_b32 v[8:9], v[4:5], v[4:5] op_sel:[0,1]
	v_pk_mov_b32 v[12:13], v[4:5], v[4:5] op_sel:[0,1]
	;; [unrolled: 1-line block ×15, first 2 shown]
.LBB74_2:                               ; =>This Inner Loop Header: Depth=1
	s_waitcnt lgkmcnt(14)
	ds_write_b128 v0, v[62:65]
	ds_write_b128 v0, v[58:61] offset:256
	s_waitcnt lgkmcnt(14)
	ds_write_b128 v0, v[46:49] offset:512
	ds_write_b128 v0, v[34:37] offset:768
	s_waitcnt lgkmcnt(14)
	ds_write_b128 v0, v[54:57] offset:1024
	;; [unrolled: 3-line block ×7, first 2 shown]
	ds_write_b128 v0, v[2:5] offset:3840
	; wave barrier
	ds_read_b128 v[62:65], v1
	ds_read_b128 v[58:61], v1 offset:16
	ds_read_b128 v[46:49], v1 offset:32
	;; [unrolled: 1-line block ×15, first 2 shown]
	s_add_i32 s0, s0, -1
	s_cmp_lg_u32 s0, 0
	; wave barrier
	s_cbranch_scc1 .LBB74_2
	s_branch .LBB74_4
.LBB74_3:
	v_mov_b32_e32 v67, 0
	v_pk_mov_b32 v[64:65], 0, 0
	v_pk_mov_b32 v[4:5], 0, 0
	v_mov_b32_e32 v59, v67
	v_mov_b32_e32 v47, v67
	;; [unrolled: 1-line block ×15, first 2 shown]
	v_pk_mov_b32 v[62:63], v[66:67], v[66:67] op_sel:[0,1]
	v_pk_mov_b32 v[60:61], v[64:65], v[64:65] op_sel:[0,1]
	;; [unrolled: 1-line block ×15, first 2 shown]
.LBB74_4:
	s_load_dwordx2 s[0:1], s[4:5], 0x0
	v_lshl_or_b32 v0, s6, 12, v66
	v_mov_b32_e32 v1, 0
	v_lshlrev_b64 v[0:1], 4, v[0:1]
	s_waitcnt lgkmcnt(0)
	v_mov_b32_e32 v66, s1
	v_add_co_u32_e32 v0, vcc, s0, v0
	v_addc_co_u32_e32 v1, vcc, v66, v1, vcc
	global_store_dwordx4 v[0:1], v[62:65], off
	global_store_dwordx4 v[0:1], v[58:61], off offset:16
	global_store_dwordx4 v[0:1], v[46:49], off offset:32
	;; [unrolled: 1-line block ×15, first 2 shown]
	s_endpgm
	.section	.rodata,"a",@progbits
	.p2align	6, 0x0
	.amdhsa_kernel _Z20warp_exchange_kernelILj256ELj16ELj16EN6common18StripedToBlockedOpEoEvPT3_j
		.amdhsa_group_segment_fixed_size 65536
		.amdhsa_private_segment_fixed_size 0
		.amdhsa_kernarg_size 12
		.amdhsa_user_sgpr_count 6
		.amdhsa_user_sgpr_private_segment_buffer 1
		.amdhsa_user_sgpr_dispatch_ptr 0
		.amdhsa_user_sgpr_queue_ptr 0
		.amdhsa_user_sgpr_kernarg_segment_ptr 1
		.amdhsa_user_sgpr_dispatch_id 0
		.amdhsa_user_sgpr_flat_scratch_init 0
		.amdhsa_user_sgpr_kernarg_preload_length 0
		.amdhsa_user_sgpr_kernarg_preload_offset 0
		.amdhsa_user_sgpr_private_segment_size 0
		.amdhsa_uses_dynamic_stack 0
		.amdhsa_system_sgpr_private_segment_wavefront_offset 0
		.amdhsa_system_sgpr_workgroup_id_x 1
		.amdhsa_system_sgpr_workgroup_id_y 0
		.amdhsa_system_sgpr_workgroup_id_z 0
		.amdhsa_system_sgpr_workgroup_info 0
		.amdhsa_system_vgpr_workitem_id 0
		.amdhsa_next_free_vgpr 68
		.amdhsa_next_free_sgpr 7
		.amdhsa_accum_offset 68
		.amdhsa_reserve_vcc 1
		.amdhsa_reserve_flat_scratch 0
		.amdhsa_float_round_mode_32 0
		.amdhsa_float_round_mode_16_64 0
		.amdhsa_float_denorm_mode_32 3
		.amdhsa_float_denorm_mode_16_64 3
		.amdhsa_dx10_clamp 1
		.amdhsa_ieee_mode 1
		.amdhsa_fp16_overflow 0
		.amdhsa_tg_split 0
		.amdhsa_exception_fp_ieee_invalid_op 0
		.amdhsa_exception_fp_denorm_src 0
		.amdhsa_exception_fp_ieee_div_zero 0
		.amdhsa_exception_fp_ieee_overflow 0
		.amdhsa_exception_fp_ieee_underflow 0
		.amdhsa_exception_fp_ieee_inexact 0
		.amdhsa_exception_int_div_zero 0
	.end_amdhsa_kernel
	.section	.text._Z20warp_exchange_kernelILj256ELj16ELj16EN6common18StripedToBlockedOpEoEvPT3_j,"axG",@progbits,_Z20warp_exchange_kernelILj256ELj16ELj16EN6common18StripedToBlockedOpEoEvPT3_j,comdat
.Lfunc_end74:
	.size	_Z20warp_exchange_kernelILj256ELj16ELj16EN6common18StripedToBlockedOpEoEvPT3_j, .Lfunc_end74-_Z20warp_exchange_kernelILj256ELj16ELj16EN6common18StripedToBlockedOpEoEvPT3_j
                                        ; -- End function
	.section	.AMDGPU.csdata,"",@progbits
; Kernel info:
; codeLenInByte = 1020
; NumSgprs: 11
; NumVgprs: 68
; NumAgprs: 0
; TotalNumVgprs: 68
; ScratchSize: 0
; MemoryBound: 1
; FloatMode: 240
; IeeeMode: 1
; LDSByteSize: 65536 bytes/workgroup (compile time only)
; SGPRBlocks: 1
; VGPRBlocks: 8
; NumSGPRsForWavesPerEU: 11
; NumVGPRsForWavesPerEU: 68
; AccumOffset: 68
; Occupancy: 1
; WaveLimiterHint : 1
; COMPUTE_PGM_RSRC2:SCRATCH_EN: 0
; COMPUTE_PGM_RSRC2:USER_SGPR: 6
; COMPUTE_PGM_RSRC2:TRAP_HANDLER: 0
; COMPUTE_PGM_RSRC2:TGID_X_EN: 1
; COMPUTE_PGM_RSRC2:TGID_Y_EN: 0
; COMPUTE_PGM_RSRC2:TGID_Z_EN: 0
; COMPUTE_PGM_RSRC2:TIDIG_COMP_CNT: 0
; COMPUTE_PGM_RSRC3_GFX90A:ACCUM_OFFSET: 16
; COMPUTE_PGM_RSRC3_GFX90A:TG_SPLIT: 0
	.section	.text._Z20warp_exchange_kernelILj256ELj16ELj32EN6common18StripedToBlockedOpEoEvPT3_j,"axG",@progbits,_Z20warp_exchange_kernelILj256ELj16ELj32EN6common18StripedToBlockedOpEoEvPT3_j,comdat
	.protected	_Z20warp_exchange_kernelILj256ELj16ELj32EN6common18StripedToBlockedOpEoEvPT3_j ; -- Begin function _Z20warp_exchange_kernelILj256ELj16ELj32EN6common18StripedToBlockedOpEoEvPT3_j
	.globl	_Z20warp_exchange_kernelILj256ELj16ELj32EN6common18StripedToBlockedOpEoEvPT3_j
	.p2align	8
	.type	_Z20warp_exchange_kernelILj256ELj16ELj32EN6common18StripedToBlockedOpEoEvPT3_j,@function
_Z20warp_exchange_kernelILj256ELj16ELj32EN6common18StripedToBlockedOpEoEvPT3_j: ; @_Z20warp_exchange_kernelILj256ELj16ELj32EN6common18StripedToBlockedOpEoEvPT3_j
; %bb.0:
	s_load_dword s0, s[4:5], 0x8
	v_lshlrev_b32_e32 v66, 4, v0
	v_or_b32_e32 v58, 1, v66
	v_or_b32_e32 v46, 2, v66
	;; [unrolled: 1-line block ×14, first 2 shown]
	s_waitcnt lgkmcnt(0)
	s_cmp_eq_u32 s0, 0
	v_or_b32_e32 v2, 15, v66
	s_cbranch_scc1 .LBB75_3
; %bb.1:
	v_mbcnt_lo_u32_b32 v1, -1, 0
	v_mbcnt_hi_u32_b32 v1, -1, v1
	v_and_b32_e32 v1, 31, v1
	v_mov_b32_e32 v3, 0
	v_lshlrev_b32_e32 v0, 8, v0
	v_lshlrev_b32_e32 v8, 4, v1
	s_mov_b32 s1, 0xe000
	v_pk_mov_b32 v[4:5], 0, 0
	v_mov_b32_e32 v67, v3
	v_and_or_b32 v0, v0, s1, v8
	v_mul_u32_u24_e32 v1, 0xf0, v1
	v_pk_mov_b32 v[64:65], 0, 0
	v_mov_b32_e32 v7, v3
	v_mov_b32_e32 v11, v3
	;; [unrolled: 1-line block ×14, first 2 shown]
	v_add_u32_e32 v1, v0, v1
	v_pk_mov_b32 v[8:9], v[4:5], v[4:5] op_sel:[0,1]
	v_pk_mov_b32 v[12:13], v[4:5], v[4:5] op_sel:[0,1]
	;; [unrolled: 1-line block ×15, first 2 shown]
.LBB75_2:                               ; =>This Inner Loop Header: Depth=1
	s_waitcnt lgkmcnt(14)
	ds_write_b128 v0, v[62:65]
	ds_write_b128 v0, v[58:61] offset:512
	s_waitcnt lgkmcnt(14)
	ds_write_b128 v0, v[46:49] offset:1024
	ds_write_b128 v0, v[34:37] offset:1536
	s_waitcnt lgkmcnt(14)
	ds_write_b128 v0, v[54:57] offset:2048
	;; [unrolled: 3-line block ×7, first 2 shown]
	ds_write_b128 v0, v[2:5] offset:7680
	; wave barrier
	ds_read_b128 v[62:65], v1
	ds_read_b128 v[58:61], v1 offset:16
	ds_read_b128 v[46:49], v1 offset:32
	;; [unrolled: 1-line block ×15, first 2 shown]
	s_add_i32 s0, s0, -1
	s_cmp_lg_u32 s0, 0
	; wave barrier
	s_cbranch_scc1 .LBB75_2
	s_branch .LBB75_4
.LBB75_3:
	v_mov_b32_e32 v67, 0
	v_pk_mov_b32 v[64:65], 0, 0
	v_pk_mov_b32 v[4:5], 0, 0
	v_mov_b32_e32 v59, v67
	v_mov_b32_e32 v47, v67
	;; [unrolled: 1-line block ×15, first 2 shown]
	v_pk_mov_b32 v[62:63], v[66:67], v[66:67] op_sel:[0,1]
	v_pk_mov_b32 v[60:61], v[64:65], v[64:65] op_sel:[0,1]
	;; [unrolled: 1-line block ×15, first 2 shown]
.LBB75_4:
	s_load_dwordx2 s[0:1], s[4:5], 0x0
	v_lshl_or_b32 v0, s6, 12, v66
	v_mov_b32_e32 v1, 0
	v_lshlrev_b64 v[0:1], 4, v[0:1]
	s_waitcnt lgkmcnt(0)
	v_mov_b32_e32 v66, s1
	v_add_co_u32_e32 v0, vcc, s0, v0
	v_addc_co_u32_e32 v1, vcc, v66, v1, vcc
	global_store_dwordx4 v[0:1], v[62:65], off
	global_store_dwordx4 v[0:1], v[58:61], off offset:16
	global_store_dwordx4 v[0:1], v[46:49], off offset:32
	global_store_dwordx4 v[0:1], v[34:37], off offset:48
	global_store_dwordx4 v[0:1], v[54:57], off offset:64
	global_store_dwordx4 v[0:1], v[50:53], off offset:80
	global_store_dwordx4 v[0:1], v[42:45], off offset:96
	global_store_dwordx4 v[0:1], v[38:41], off offset:112
	global_store_dwordx4 v[0:1], v[30:33], off offset:128
	global_store_dwordx4 v[0:1], v[26:29], off offset:144
	global_store_dwordx4 v[0:1], v[22:25], off offset:160
	global_store_dwordx4 v[0:1], v[18:21], off offset:176
	global_store_dwordx4 v[0:1], v[14:17], off offset:192
	global_store_dwordx4 v[0:1], v[10:13], off offset:208
	global_store_dwordx4 v[0:1], v[6:9], off offset:224
	global_store_dwordx4 v[0:1], v[2:5], off offset:240
	s_endpgm
	.section	.rodata,"a",@progbits
	.p2align	6, 0x0
	.amdhsa_kernel _Z20warp_exchange_kernelILj256ELj16ELj32EN6common18StripedToBlockedOpEoEvPT3_j
		.amdhsa_group_segment_fixed_size 65536
		.amdhsa_private_segment_fixed_size 0
		.amdhsa_kernarg_size 12
		.amdhsa_user_sgpr_count 6
		.amdhsa_user_sgpr_private_segment_buffer 1
		.amdhsa_user_sgpr_dispatch_ptr 0
		.amdhsa_user_sgpr_queue_ptr 0
		.amdhsa_user_sgpr_kernarg_segment_ptr 1
		.amdhsa_user_sgpr_dispatch_id 0
		.amdhsa_user_sgpr_flat_scratch_init 0
		.amdhsa_user_sgpr_kernarg_preload_length 0
		.amdhsa_user_sgpr_kernarg_preload_offset 0
		.amdhsa_user_sgpr_private_segment_size 0
		.amdhsa_uses_dynamic_stack 0
		.amdhsa_system_sgpr_private_segment_wavefront_offset 0
		.amdhsa_system_sgpr_workgroup_id_x 1
		.amdhsa_system_sgpr_workgroup_id_y 0
		.amdhsa_system_sgpr_workgroup_id_z 0
		.amdhsa_system_sgpr_workgroup_info 0
		.amdhsa_system_vgpr_workitem_id 0
		.amdhsa_next_free_vgpr 68
		.amdhsa_next_free_sgpr 7
		.amdhsa_accum_offset 68
		.amdhsa_reserve_vcc 1
		.amdhsa_reserve_flat_scratch 0
		.amdhsa_float_round_mode_32 0
		.amdhsa_float_round_mode_16_64 0
		.amdhsa_float_denorm_mode_32 3
		.amdhsa_float_denorm_mode_16_64 3
		.amdhsa_dx10_clamp 1
		.amdhsa_ieee_mode 1
		.amdhsa_fp16_overflow 0
		.amdhsa_tg_split 0
		.amdhsa_exception_fp_ieee_invalid_op 0
		.amdhsa_exception_fp_denorm_src 0
		.amdhsa_exception_fp_ieee_div_zero 0
		.amdhsa_exception_fp_ieee_overflow 0
		.amdhsa_exception_fp_ieee_underflow 0
		.amdhsa_exception_fp_ieee_inexact 0
		.amdhsa_exception_int_div_zero 0
	.end_amdhsa_kernel
	.section	.text._Z20warp_exchange_kernelILj256ELj16ELj32EN6common18StripedToBlockedOpEoEvPT3_j,"axG",@progbits,_Z20warp_exchange_kernelILj256ELj16ELj32EN6common18StripedToBlockedOpEoEvPT3_j,comdat
.Lfunc_end75:
	.size	_Z20warp_exchange_kernelILj256ELj16ELj32EN6common18StripedToBlockedOpEoEvPT3_j, .Lfunc_end75-_Z20warp_exchange_kernelILj256ELj16ELj32EN6common18StripedToBlockedOpEoEvPT3_j
                                        ; -- End function
	.section	.AMDGPU.csdata,"",@progbits
; Kernel info:
; codeLenInByte = 1020
; NumSgprs: 11
; NumVgprs: 68
; NumAgprs: 0
; TotalNumVgprs: 68
; ScratchSize: 0
; MemoryBound: 1
; FloatMode: 240
; IeeeMode: 1
; LDSByteSize: 65536 bytes/workgroup (compile time only)
; SGPRBlocks: 1
; VGPRBlocks: 8
; NumSGPRsForWavesPerEU: 11
; NumVGPRsForWavesPerEU: 68
; AccumOffset: 68
; Occupancy: 1
; WaveLimiterHint : 1
; COMPUTE_PGM_RSRC2:SCRATCH_EN: 0
; COMPUTE_PGM_RSRC2:USER_SGPR: 6
; COMPUTE_PGM_RSRC2:TRAP_HANDLER: 0
; COMPUTE_PGM_RSRC2:TGID_X_EN: 1
; COMPUTE_PGM_RSRC2:TGID_Y_EN: 0
; COMPUTE_PGM_RSRC2:TGID_Z_EN: 0
; COMPUTE_PGM_RSRC2:TIDIG_COMP_CNT: 0
; COMPUTE_PGM_RSRC3_GFX90A:ACCUM_OFFSET: 16
; COMPUTE_PGM_RSRC3_GFX90A:TG_SPLIT: 0
	.section	.text._Z20warp_exchange_kernelILj256ELj1ELj16EN6common25BlockedToStripedShuffleOpEoEvPT3_j,"axG",@progbits,_Z20warp_exchange_kernelILj256ELj1ELj16EN6common25BlockedToStripedShuffleOpEoEvPT3_j,comdat
	.protected	_Z20warp_exchange_kernelILj256ELj1ELj16EN6common25BlockedToStripedShuffleOpEoEvPT3_j ; -- Begin function _Z20warp_exchange_kernelILj256ELj1ELj16EN6common25BlockedToStripedShuffleOpEoEvPT3_j
	.globl	_Z20warp_exchange_kernelILj256ELj1ELj16EN6common25BlockedToStripedShuffleOpEoEvPT3_j
	.p2align	8
	.type	_Z20warp_exchange_kernelILj256ELj1ELj16EN6common25BlockedToStripedShuffleOpEoEvPT3_j,@function
_Z20warp_exchange_kernelILj256ELj1ELj16EN6common25BlockedToStripedShuffleOpEoEvPT3_j: ; @_Z20warp_exchange_kernelILj256ELj1ELj16EN6common25BlockedToStripedShuffleOpEoEvPT3_j
; %bb.0:
	s_load_dword s0, s[4:5], 0x8
	v_mov_b32_e32 v5, 0
	s_waitcnt lgkmcnt(0)
	s_cmp_eq_u32 s0, 0
	s_cbranch_scc1 .LBB76_3
; %bb.1:
	v_mbcnt_lo_u32_b32 v1, -1, 0
	v_mbcnt_hi_u32_b32 v1, -1, v1
	v_lshlrev_b32_e32 v1, 2, v1
	v_mov_b32_e32 v2, v0
	v_mov_b32_e32 v3, 0
	;; [unrolled: 1-line block ×3, first 2 shown]
.LBB76_2:                               ; =>This Inner Loop Header: Depth=1
	s_waitcnt lgkmcnt(3)
	ds_bpermute_b32 v2, v1, v2
	s_waitcnt lgkmcnt(3)
	ds_bpermute_b32 v3, v1, v3
	;; [unrolled: 2-line block ×4, first 2 shown]
	s_add_i32 s0, s0, -1
	s_cmp_lg_u32 s0, 0
	; wave barrier
	s_cbranch_scc1 .LBB76_2
	s_branch .LBB76_4
.LBB76_3:
	v_mov_b32_e32 v2, v0
	v_mov_b32_e32 v3, 0
	;; [unrolled: 1-line block ×3, first 2 shown]
.LBB76_4:
	s_load_dwordx2 s[0:1], s[4:5], 0x0
	v_lshl_or_b32 v0, s6, 8, v0
	v_mov_b32_e32 v1, 0
	v_lshlrev_b64 v[0:1], 4, v[0:1]
	s_waitcnt lgkmcnt(0)
	v_mov_b32_e32 v6, s1
	v_add_co_u32_e32 v0, vcc, s0, v0
	v_addc_co_u32_e32 v1, vcc, v6, v1, vcc
	global_store_dwordx4 v[0:1], v[2:5], off
	s_endpgm
	.section	.rodata,"a",@progbits
	.p2align	6, 0x0
	.amdhsa_kernel _Z20warp_exchange_kernelILj256ELj1ELj16EN6common25BlockedToStripedShuffleOpEoEvPT3_j
		.amdhsa_group_segment_fixed_size 0
		.amdhsa_private_segment_fixed_size 0
		.amdhsa_kernarg_size 12
		.amdhsa_user_sgpr_count 6
		.amdhsa_user_sgpr_private_segment_buffer 1
		.amdhsa_user_sgpr_dispatch_ptr 0
		.amdhsa_user_sgpr_queue_ptr 0
		.amdhsa_user_sgpr_kernarg_segment_ptr 1
		.amdhsa_user_sgpr_dispatch_id 0
		.amdhsa_user_sgpr_flat_scratch_init 0
		.amdhsa_user_sgpr_kernarg_preload_length 0
		.amdhsa_user_sgpr_kernarg_preload_offset 0
		.amdhsa_user_sgpr_private_segment_size 0
		.amdhsa_uses_dynamic_stack 0
		.amdhsa_system_sgpr_private_segment_wavefront_offset 0
		.amdhsa_system_sgpr_workgroup_id_x 1
		.amdhsa_system_sgpr_workgroup_id_y 0
		.amdhsa_system_sgpr_workgroup_id_z 0
		.amdhsa_system_sgpr_workgroup_info 0
		.amdhsa_system_vgpr_workitem_id 0
		.amdhsa_next_free_vgpr 7
		.amdhsa_next_free_sgpr 7
		.amdhsa_accum_offset 8
		.amdhsa_reserve_vcc 1
		.amdhsa_reserve_flat_scratch 0
		.amdhsa_float_round_mode_32 0
		.amdhsa_float_round_mode_16_64 0
		.amdhsa_float_denorm_mode_32 3
		.amdhsa_float_denorm_mode_16_64 3
		.amdhsa_dx10_clamp 1
		.amdhsa_ieee_mode 1
		.amdhsa_fp16_overflow 0
		.amdhsa_tg_split 0
		.amdhsa_exception_fp_ieee_invalid_op 0
		.amdhsa_exception_fp_denorm_src 0
		.amdhsa_exception_fp_ieee_div_zero 0
		.amdhsa_exception_fp_ieee_overflow 0
		.amdhsa_exception_fp_ieee_underflow 0
		.amdhsa_exception_fp_ieee_inexact 0
		.amdhsa_exception_int_div_zero 0
	.end_amdhsa_kernel
	.section	.text._Z20warp_exchange_kernelILj256ELj1ELj16EN6common25BlockedToStripedShuffleOpEoEvPT3_j,"axG",@progbits,_Z20warp_exchange_kernelILj256ELj1ELj16EN6common25BlockedToStripedShuffleOpEoEvPT3_j,comdat
.Lfunc_end76:
	.size	_Z20warp_exchange_kernelILj256ELj1ELj16EN6common25BlockedToStripedShuffleOpEoEvPT3_j, .Lfunc_end76-_Z20warp_exchange_kernelILj256ELj1ELj16EN6common25BlockedToStripedShuffleOpEoEvPT3_j
                                        ; -- End function
	.section	.AMDGPU.csdata,"",@progbits
; Kernel info:
; codeLenInByte = 188
; NumSgprs: 11
; NumVgprs: 7
; NumAgprs: 0
; TotalNumVgprs: 7
; ScratchSize: 0
; MemoryBound: 0
; FloatMode: 240
; IeeeMode: 1
; LDSByteSize: 0 bytes/workgroup (compile time only)
; SGPRBlocks: 1
; VGPRBlocks: 0
; NumSGPRsForWavesPerEU: 11
; NumVGPRsForWavesPerEU: 7
; AccumOffset: 8
; Occupancy: 8
; WaveLimiterHint : 0
; COMPUTE_PGM_RSRC2:SCRATCH_EN: 0
; COMPUTE_PGM_RSRC2:USER_SGPR: 6
; COMPUTE_PGM_RSRC2:TRAP_HANDLER: 0
; COMPUTE_PGM_RSRC2:TGID_X_EN: 1
; COMPUTE_PGM_RSRC2:TGID_Y_EN: 0
; COMPUTE_PGM_RSRC2:TGID_Z_EN: 0
; COMPUTE_PGM_RSRC2:TIDIG_COMP_CNT: 0
; COMPUTE_PGM_RSRC3_GFX90A:ACCUM_OFFSET: 1
; COMPUTE_PGM_RSRC3_GFX90A:TG_SPLIT: 0
	.section	.text._Z20warp_exchange_kernelILj256ELj1ELj32EN6common25BlockedToStripedShuffleOpEoEvPT3_j,"axG",@progbits,_Z20warp_exchange_kernelILj256ELj1ELj32EN6common25BlockedToStripedShuffleOpEoEvPT3_j,comdat
	.protected	_Z20warp_exchange_kernelILj256ELj1ELj32EN6common25BlockedToStripedShuffleOpEoEvPT3_j ; -- Begin function _Z20warp_exchange_kernelILj256ELj1ELj32EN6common25BlockedToStripedShuffleOpEoEvPT3_j
	.globl	_Z20warp_exchange_kernelILj256ELj1ELj32EN6common25BlockedToStripedShuffleOpEoEvPT3_j
	.p2align	8
	.type	_Z20warp_exchange_kernelILj256ELj1ELj32EN6common25BlockedToStripedShuffleOpEoEvPT3_j,@function
_Z20warp_exchange_kernelILj256ELj1ELj32EN6common25BlockedToStripedShuffleOpEoEvPT3_j: ; @_Z20warp_exchange_kernelILj256ELj1ELj32EN6common25BlockedToStripedShuffleOpEoEvPT3_j
; %bb.0:
	s_load_dword s0, s[4:5], 0x8
	v_mov_b32_e32 v5, 0
	s_waitcnt lgkmcnt(0)
	s_cmp_eq_u32 s0, 0
	s_cbranch_scc1 .LBB77_3
; %bb.1:
	v_mbcnt_lo_u32_b32 v1, -1, 0
	v_mbcnt_hi_u32_b32 v1, -1, v1
	v_lshlrev_b32_e32 v1, 2, v1
	v_mov_b32_e32 v2, v0
	v_mov_b32_e32 v3, 0
	;; [unrolled: 1-line block ×3, first 2 shown]
.LBB77_2:                               ; =>This Inner Loop Header: Depth=1
	s_waitcnt lgkmcnt(3)
	ds_bpermute_b32 v2, v1, v2
	s_waitcnt lgkmcnt(3)
	ds_bpermute_b32 v3, v1, v3
	;; [unrolled: 2-line block ×4, first 2 shown]
	s_add_i32 s0, s0, -1
	s_cmp_lg_u32 s0, 0
	; wave barrier
	s_cbranch_scc1 .LBB77_2
	s_branch .LBB77_4
.LBB77_3:
	v_mov_b32_e32 v2, v0
	v_mov_b32_e32 v3, 0
	;; [unrolled: 1-line block ×3, first 2 shown]
.LBB77_4:
	s_load_dwordx2 s[0:1], s[4:5], 0x0
	v_lshl_or_b32 v0, s6, 8, v0
	v_mov_b32_e32 v1, 0
	v_lshlrev_b64 v[0:1], 4, v[0:1]
	s_waitcnt lgkmcnt(0)
	v_mov_b32_e32 v6, s1
	v_add_co_u32_e32 v0, vcc, s0, v0
	v_addc_co_u32_e32 v1, vcc, v6, v1, vcc
	global_store_dwordx4 v[0:1], v[2:5], off
	s_endpgm
	.section	.rodata,"a",@progbits
	.p2align	6, 0x0
	.amdhsa_kernel _Z20warp_exchange_kernelILj256ELj1ELj32EN6common25BlockedToStripedShuffleOpEoEvPT3_j
		.amdhsa_group_segment_fixed_size 0
		.amdhsa_private_segment_fixed_size 0
		.amdhsa_kernarg_size 12
		.amdhsa_user_sgpr_count 6
		.amdhsa_user_sgpr_private_segment_buffer 1
		.amdhsa_user_sgpr_dispatch_ptr 0
		.amdhsa_user_sgpr_queue_ptr 0
		.amdhsa_user_sgpr_kernarg_segment_ptr 1
		.amdhsa_user_sgpr_dispatch_id 0
		.amdhsa_user_sgpr_flat_scratch_init 0
		.amdhsa_user_sgpr_kernarg_preload_length 0
		.amdhsa_user_sgpr_kernarg_preload_offset 0
		.amdhsa_user_sgpr_private_segment_size 0
		.amdhsa_uses_dynamic_stack 0
		.amdhsa_system_sgpr_private_segment_wavefront_offset 0
		.amdhsa_system_sgpr_workgroup_id_x 1
		.amdhsa_system_sgpr_workgroup_id_y 0
		.amdhsa_system_sgpr_workgroup_id_z 0
		.amdhsa_system_sgpr_workgroup_info 0
		.amdhsa_system_vgpr_workitem_id 0
		.amdhsa_next_free_vgpr 7
		.amdhsa_next_free_sgpr 7
		.amdhsa_accum_offset 8
		.amdhsa_reserve_vcc 1
		.amdhsa_reserve_flat_scratch 0
		.amdhsa_float_round_mode_32 0
		.amdhsa_float_round_mode_16_64 0
		.amdhsa_float_denorm_mode_32 3
		.amdhsa_float_denorm_mode_16_64 3
		.amdhsa_dx10_clamp 1
		.amdhsa_ieee_mode 1
		.amdhsa_fp16_overflow 0
		.amdhsa_tg_split 0
		.amdhsa_exception_fp_ieee_invalid_op 0
		.amdhsa_exception_fp_denorm_src 0
		.amdhsa_exception_fp_ieee_div_zero 0
		.amdhsa_exception_fp_ieee_overflow 0
		.amdhsa_exception_fp_ieee_underflow 0
		.amdhsa_exception_fp_ieee_inexact 0
		.amdhsa_exception_int_div_zero 0
	.end_amdhsa_kernel
	.section	.text._Z20warp_exchange_kernelILj256ELj1ELj32EN6common25BlockedToStripedShuffleOpEoEvPT3_j,"axG",@progbits,_Z20warp_exchange_kernelILj256ELj1ELj32EN6common25BlockedToStripedShuffleOpEoEvPT3_j,comdat
.Lfunc_end77:
	.size	_Z20warp_exchange_kernelILj256ELj1ELj32EN6common25BlockedToStripedShuffleOpEoEvPT3_j, .Lfunc_end77-_Z20warp_exchange_kernelILj256ELj1ELj32EN6common25BlockedToStripedShuffleOpEoEvPT3_j
                                        ; -- End function
	.section	.AMDGPU.csdata,"",@progbits
; Kernel info:
; codeLenInByte = 188
; NumSgprs: 11
; NumVgprs: 7
; NumAgprs: 0
; TotalNumVgprs: 7
; ScratchSize: 0
; MemoryBound: 0
; FloatMode: 240
; IeeeMode: 1
; LDSByteSize: 0 bytes/workgroup (compile time only)
; SGPRBlocks: 1
; VGPRBlocks: 0
; NumSGPRsForWavesPerEU: 11
; NumVGPRsForWavesPerEU: 7
; AccumOffset: 8
; Occupancy: 8
; WaveLimiterHint : 0
; COMPUTE_PGM_RSRC2:SCRATCH_EN: 0
; COMPUTE_PGM_RSRC2:USER_SGPR: 6
; COMPUTE_PGM_RSRC2:TRAP_HANDLER: 0
; COMPUTE_PGM_RSRC2:TGID_X_EN: 1
; COMPUTE_PGM_RSRC2:TGID_Y_EN: 0
; COMPUTE_PGM_RSRC2:TGID_Z_EN: 0
; COMPUTE_PGM_RSRC2:TIDIG_COMP_CNT: 0
; COMPUTE_PGM_RSRC3_GFX90A:ACCUM_OFFSET: 1
; COMPUTE_PGM_RSRC3_GFX90A:TG_SPLIT: 0
	.section	.text._Z20warp_exchange_kernelILj256ELj4ELj16EN6common25BlockedToStripedShuffleOpEoEvPT3_j,"axG",@progbits,_Z20warp_exchange_kernelILj256ELj4ELj16EN6common25BlockedToStripedShuffleOpEoEvPT3_j,comdat
	.protected	_Z20warp_exchange_kernelILj256ELj4ELj16EN6common25BlockedToStripedShuffleOpEoEvPT3_j ; -- Begin function _Z20warp_exchange_kernelILj256ELj4ELj16EN6common25BlockedToStripedShuffleOpEoEvPT3_j
	.globl	_Z20warp_exchange_kernelILj256ELj4ELj16EN6common25BlockedToStripedShuffleOpEoEvPT3_j
	.p2align	8
	.type	_Z20warp_exchange_kernelILj256ELj4ELj16EN6common25BlockedToStripedShuffleOpEoEvPT3_j,@function
_Z20warp_exchange_kernelILj256ELj4ELj16EN6common25BlockedToStripedShuffleOpEoEvPT3_j: ; @_Z20warp_exchange_kernelILj256ELj4ELj16EN6common25BlockedToStripedShuffleOpEoEvPT3_j
; %bb.0:
	s_load_dword s7, s[4:5], 0x8
	v_lshlrev_b32_e32 v16, 2, v0
	v_or_b32_e32 v12, 1, v16
	v_or_b32_e32 v8, 2, v16
	;; [unrolled: 1-line block ×3, first 2 shown]
	s_waitcnt lgkmcnt(0)
	s_cmp_eq_u32 s7, 0
	v_mov_b32_e32 v17, 0
	s_cbranch_scc1 .LBB78_4
; %bb.1:
	v_mbcnt_lo_u32_b32 v0, -1, 0
	v_mbcnt_hi_u32_b32 v0, -1, v0
	v_and_b32_e32 v1, 3, v0
	v_add_u32_e32 v5, -1, v0
	v_xor_b32_e32 v7, 2, v1
	v_and_b32_e32 v6, 3, v5
	v_add_u32_e32 v5, -1, v7
	v_lshlrev_b32_e32 v11, 2, v0
	v_and_b32_e32 v9, 3, v5
	v_and_b32_e32 v10, 0x70, v0
	v_add_u32_e32 v5, 12, v0
	v_xor_b32_e32 v18, 32, v11
	v_add_u32_e32 v11, 4, v0
	v_and_or_b32 v5, v5, 15, v10
	v_and_or_b32 v10, v11, 15, v10
	v_lshlrev_b32_e32 v19, 2, v10
	v_lshrrev_b32_e32 v10, 2, v0
	v_bfe_u32 v0, v0, 2, 2
	v_xor_b32_e32 v11, 2, v0
	v_add_u32_e32 v10, -1, v10
	v_add_u32_e32 v13, -1, v11
	v_and_b32_e32 v10, 3, v10
	v_and_b32_e32 v13, 3, v13
	v_pk_mov_b32 v[2:3], 0, 0
	v_lshlrev_b32_e32 v5, 2, v5
	v_cmp_eq_u32_e32 vcc, 1, v1
	v_cmp_eq_u32_e64 s[0:1], 2, v1
	v_cmp_eq_u32_e64 s[2:3], 3, v1
	;; [unrolled: 1-line block ×23, first 2 shown]
	v_mov_b32_e32 v6, v17
	v_mov_b32_e32 v7, v17
	;; [unrolled: 1-line block ×8, first 2 shown]
	v_pk_mov_b32 v[0:1], v[16:17], v[16:17] op_sel:[0,1]
.LBB78_2:                               ; =>This Inner Loop Header: Depth=1
	s_waitcnt lgkmcnt(10)
	v_mov_b32_dpp v13, v13 quad_perm:[3,0,1,2] row_mask:0xf bank_mask:0xf
	s_waitcnt lgkmcnt(8)
	v_mov_b32_dpp v15, v15 quad_perm:[3,0,1,2] row_mask:0xf bank_mask:0xf
	v_mov_b32_dpp v14, v14 quad_perm:[3,0,1,2] row_mask:0xf bank_mask:0xf
	s_waitcnt lgkmcnt(6)
	v_mov_b32_dpp v9, v9 quad_perm:[2,3,0,1] row_mask:0xf bank_mask:0xf
	s_waitcnt lgkmcnt(4)
	v_mov_b32_dpp v11, v11 quad_perm:[2,3,0,1] row_mask:0xf bank_mask:0xf
	v_cndmask_b32_e64 v24, v3, v15, s[50:51]
	v_cndmask_b32_e64 v26, v1, v13, s[50:51]
	v_mov_b32_dpp v12, v12 quad_perm:[3,0,1,2] row_mask:0xf bank_mask:0xf
	v_mov_b32_dpp v10, v10 quad_perm:[2,3,0,1] row_mask:0xf bank_mask:0xf
	s_waitcnt lgkmcnt(2)
	v_mov_b32_dpp v17, v17 quad_perm:[1,2,3,0] row_mask:0xf bank_mask:0xf
	s_waitcnt lgkmcnt(0)
	v_mov_b32_dpp v7, v7 quad_perm:[1,2,3,0] row_mask:0xf bank_mask:0xf
	v_cndmask_b32_e32 v20, v2, v14, vcc
	v_cndmask_b32_e64 v24, v24, v11, s[8:9]
	v_cndmask_b32_e64 v25, v2, v14, s[50:51]
	;; [unrolled: 1-line block ×7, first 2 shown]
	v_mov_b32_dpp v8, v8 quad_perm:[2,3,0,1] row_mask:0xf bank_mask:0xf
	v_mov_b32_dpp v6, v6 quad_perm:[1,2,3,0] row_mask:0xf bank_mask:0xf
	v_cndmask_b32_e64 v20, v20, v10, s[0:1]
	v_cndmask_b32_e32 v21, v3, v15, vcc
	v_cndmask_b32_e32 v22, v0, v12, vcc
	v_cndmask_b32_e32 v23, v1, v13, vcc
	v_cndmask_b32_e64 v24, v24, v7, s[10:11]
	v_cndmask_b32_e64 v25, v25, v10, s[8:9]
	;; [unrolled: 1-line block ×12, first 2 shown]
	v_mov_b32_dpp v4, v4 quad_perm:[1,2,3,0] row_mask:0xf bank_mask:0xf
	v_cndmask_b32_e64 v20, v20, v6, s[2:3]
	v_cndmask_b32_e64 v22, v22, v8, s[0:1]
	;; [unrolled: 1-line block ×12, first 2 shown]
	v_mov_b32_dpp v6, v26 quad_perm:[1,2,3,0] row_mask:0xf bank_mask:0xf
	v_mov_b32_dpp v8, v24 quad_perm:[1,2,3,0] row_mask:0xf bank_mask:0xf
	v_cndmask_b32_e64 v21, v21, v11, s[0:1]
	v_cndmask_b32_e64 v27, v27, v4, s[10:11]
	;; [unrolled: 1-line block ×4, first 2 shown]
	v_mov_b32_dpp v10, v30 quad_perm:[2,3,0,1] row_mask:0xf bank_mask:0xf
	v_mov_b32_dpp v12, v28 quad_perm:[2,3,0,1] row_mask:0xf bank_mask:0xf
	ds_bpermute_b32 v6, v5, v6
	ds_bpermute_b32 v8, v5, v8
	v_cndmask_b32_e64 v21, v21, v7, s[2:3]
	v_cndmask_b32_e64 v22, v22, v4, s[2:3]
	;; [unrolled: 1-line block ×5, first 2 shown]
	v_mov_b32_dpp v4, v27 quad_perm:[1,2,3,0] row_mask:0xf bank_mask:0xf
	v_mov_b32_dpp v7, v25 quad_perm:[1,2,3,0] row_mask:0xf bank_mask:0xf
	;; [unrolled: 1-line block ×4, first 2 shown]
	ds_bpermute_b32 v10, v18, v10
	ds_bpermute_b32 v12, v18, v12
	v_cndmask_b32_e64 v23, v23, v17, s[2:3]
	v_mov_b32_dpp v9, v31 quad_perm:[2,3,0,1] row_mask:0xf bank_mask:0xf
	v_mov_b32_dpp v11, v29 quad_perm:[2,3,0,1] row_mask:0xf bank_mask:0xf
	ds_bpermute_b32 v4, v5, v4
	ds_bpermute_b32 v7, v5, v7
	;; [unrolled: 1-line block ×4, first 2 shown]
	v_mov_b32_dpp v0, v0 quad_perm:[3,0,1,2] row_mask:0xf bank_mask:0xf
	v_mov_b32_dpp v2, v2 quad_perm:[3,0,1,2] row_mask:0xf bank_mask:0xf
	ds_bpermute_b32 v9, v18, v9
	ds_bpermute_b32 v11, v18, v11
	;; [unrolled: 1-line block ×4, first 2 shown]
	s_waitcnt lgkmcnt(11)
	v_cndmask_b32_e64 v0, v23, v6, s[24:25]
	s_waitcnt lgkmcnt(10)
	v_cndmask_b32_e64 v2, v21, v8, s[24:25]
	;; [unrolled: 2-line block ×5, first 2 shown]
	v_cndmask_b32_e64 v0, v22, v4, s[24:25]
	s_waitcnt lgkmcnt(4)
	v_cndmask_b32_e64 v3, v2, v17, s[28:29]
	v_cndmask_b32_e64 v2, v20, v7, s[24:25]
	v_cndmask_b32_e64 v24, v21, v8, s[30:31]
	v_cndmask_b32_e64 v25, v20, v7, s[30:31]
	v_cndmask_b32_e64 v26, v23, v6, s[30:31]
	v_cndmask_b32_e64 v27, v22, v4, s[30:31]
	v_cndmask_b32_e64 v28, v21, v8, s[38:39]
	v_cndmask_b32_e64 v29, v20, v7, s[38:39]
	v_cndmask_b32_e64 v30, v23, v6, s[38:39]
	v_cndmask_b32_e64 v31, v22, v4, s[38:39]
	v_cndmask_b32_e64 v8, v21, v8, s[44:45]
	v_cndmask_b32_e64 v7, v20, v7, s[44:45]
	v_cndmask_b32_e64 v6, v23, v6, s[44:45]
	v_cndmask_b32_e64 v4, v22, v4, s[44:45]
	v_cndmask_b32_e64 v24, v24, v12, s[34:35]
	s_waitcnt lgkmcnt(2)
	v_cndmask_b32_e64 v25, v25, v11, s[34:35]
	v_cndmask_b32_e64 v26, v26, v10, s[34:35]
	;; [unrolled: 1-line block ×14, first 2 shown]
	s_waitcnt lgkmcnt(0)
	v_cndmask_b32_e64 v25, v25, v15, s[36:37]
	v_cndmask_b32_e64 v26, v26, v14, s[36:37]
	;; [unrolled: 1-line block ×13, first 2 shown]
	ds_bpermute_b32 v12, v19, v27
	ds_bpermute_b32 v13, v19, v26
	;; [unrolled: 1-line block ×12, first 2 shown]
	s_add_i32 s7, s7, -1
	s_cmp_eq_u32 s7, 0
	; wave barrier
	s_cbranch_scc0 .LBB78_2
; %bb.3:
	s_waitcnt lgkmcnt(2)
	v_mov_b32_e32 v5, v17
	s_branch .LBB78_5
.LBB78_4:
	v_pk_mov_b32 v[6:7], 0, 0
	v_pk_mov_b32 v[2:3], 0, 0
	v_mov_b32_e32 v13, v17
	v_mov_b32_e32 v9, v17
	;; [unrolled: 1-line block ×3, first 2 shown]
	v_pk_mov_b32 v[0:1], v[16:17], v[16:17] op_sel:[0,1]
	v_pk_mov_b32 v[14:15], 0, 0
	v_pk_mov_b32 v[10:11], 0, 0
.LBB78_5:
	s_load_dwordx2 s[0:1], s[4:5], 0x0
	v_lshl_or_b32 v16, s6, 10, v16
	v_mov_b32_e32 v17, 0
	v_lshlrev_b64 v[16:17], 4, v[16:17]
	s_waitcnt lgkmcnt(0)
	v_mov_b32_e32 v18, s1
	v_add_co_u32_e32 v16, vcc, s0, v16
	v_addc_co_u32_e32 v17, vcc, v18, v17, vcc
	global_store_dwordx4 v[16:17], v[0:3], off
	global_store_dwordx4 v[16:17], v[12:15], off offset:16
	global_store_dwordx4 v[16:17], v[8:11], off offset:32
	;; [unrolled: 1-line block ×3, first 2 shown]
	s_endpgm
	.section	.rodata,"a",@progbits
	.p2align	6, 0x0
	.amdhsa_kernel _Z20warp_exchange_kernelILj256ELj4ELj16EN6common25BlockedToStripedShuffleOpEoEvPT3_j
		.amdhsa_group_segment_fixed_size 0
		.amdhsa_private_segment_fixed_size 0
		.amdhsa_kernarg_size 12
		.amdhsa_user_sgpr_count 6
		.amdhsa_user_sgpr_private_segment_buffer 1
		.amdhsa_user_sgpr_dispatch_ptr 0
		.amdhsa_user_sgpr_queue_ptr 0
		.amdhsa_user_sgpr_kernarg_segment_ptr 1
		.amdhsa_user_sgpr_dispatch_id 0
		.amdhsa_user_sgpr_flat_scratch_init 0
		.amdhsa_user_sgpr_kernarg_preload_length 0
		.amdhsa_user_sgpr_kernarg_preload_offset 0
		.amdhsa_user_sgpr_private_segment_size 0
		.amdhsa_uses_dynamic_stack 0
		.amdhsa_system_sgpr_private_segment_wavefront_offset 0
		.amdhsa_system_sgpr_workgroup_id_x 1
		.amdhsa_system_sgpr_workgroup_id_y 0
		.amdhsa_system_sgpr_workgroup_id_z 0
		.amdhsa_system_sgpr_workgroup_info 0
		.amdhsa_system_vgpr_workitem_id 0
		.amdhsa_next_free_vgpr 32
		.amdhsa_next_free_sgpr 52
		.amdhsa_accum_offset 32
		.amdhsa_reserve_vcc 1
		.amdhsa_reserve_flat_scratch 0
		.amdhsa_float_round_mode_32 0
		.amdhsa_float_round_mode_16_64 0
		.amdhsa_float_denorm_mode_32 3
		.amdhsa_float_denorm_mode_16_64 3
		.amdhsa_dx10_clamp 1
		.amdhsa_ieee_mode 1
		.amdhsa_fp16_overflow 0
		.amdhsa_tg_split 0
		.amdhsa_exception_fp_ieee_invalid_op 0
		.amdhsa_exception_fp_denorm_src 0
		.amdhsa_exception_fp_ieee_div_zero 0
		.amdhsa_exception_fp_ieee_overflow 0
		.amdhsa_exception_fp_ieee_underflow 0
		.amdhsa_exception_fp_ieee_inexact 0
		.amdhsa_exception_int_div_zero 0
	.end_amdhsa_kernel
	.section	.text._Z20warp_exchange_kernelILj256ELj4ELj16EN6common25BlockedToStripedShuffleOpEoEvPT3_j,"axG",@progbits,_Z20warp_exchange_kernelILj256ELj4ELj16EN6common25BlockedToStripedShuffleOpEoEvPT3_j,comdat
.Lfunc_end78:
	.size	_Z20warp_exchange_kernelILj256ELj4ELj16EN6common25BlockedToStripedShuffleOpEoEvPT3_j, .Lfunc_end78-_Z20warp_exchange_kernelILj256ELj4ELj16EN6common25BlockedToStripedShuffleOpEoEvPT3_j
                                        ; -- End function
	.section	.AMDGPU.csdata,"",@progbits
; Kernel info:
; codeLenInByte = 1744
; NumSgprs: 56
; NumVgprs: 32
; NumAgprs: 0
; TotalNumVgprs: 32
; ScratchSize: 0
; MemoryBound: 0
; FloatMode: 240
; IeeeMode: 1
; LDSByteSize: 0 bytes/workgroup (compile time only)
; SGPRBlocks: 6
; VGPRBlocks: 3
; NumSGPRsForWavesPerEU: 56
; NumVGPRsForWavesPerEU: 32
; AccumOffset: 32
; Occupancy: 8
; WaveLimiterHint : 0
; COMPUTE_PGM_RSRC2:SCRATCH_EN: 0
; COMPUTE_PGM_RSRC2:USER_SGPR: 6
; COMPUTE_PGM_RSRC2:TRAP_HANDLER: 0
; COMPUTE_PGM_RSRC2:TGID_X_EN: 1
; COMPUTE_PGM_RSRC2:TGID_Y_EN: 0
; COMPUTE_PGM_RSRC2:TGID_Z_EN: 0
; COMPUTE_PGM_RSRC2:TIDIG_COMP_CNT: 0
; COMPUTE_PGM_RSRC3_GFX90A:ACCUM_OFFSET: 7
; COMPUTE_PGM_RSRC3_GFX90A:TG_SPLIT: 0
	.section	.text._Z20warp_exchange_kernelILj256ELj4ELj32EN6common25BlockedToStripedShuffleOpEoEvPT3_j,"axG",@progbits,_Z20warp_exchange_kernelILj256ELj4ELj32EN6common25BlockedToStripedShuffleOpEoEvPT3_j,comdat
	.protected	_Z20warp_exchange_kernelILj256ELj4ELj32EN6common25BlockedToStripedShuffleOpEoEvPT3_j ; -- Begin function _Z20warp_exchange_kernelILj256ELj4ELj32EN6common25BlockedToStripedShuffleOpEoEvPT3_j
	.globl	_Z20warp_exchange_kernelILj256ELj4ELj32EN6common25BlockedToStripedShuffleOpEoEvPT3_j
	.p2align	8
	.type	_Z20warp_exchange_kernelILj256ELj4ELj32EN6common25BlockedToStripedShuffleOpEoEvPT3_j,@function
_Z20warp_exchange_kernelILj256ELj4ELj32EN6common25BlockedToStripedShuffleOpEoEvPT3_j: ; @_Z20warp_exchange_kernelILj256ELj4ELj32EN6common25BlockedToStripedShuffleOpEoEvPT3_j
; %bb.0:
	s_load_dword s7, s[4:5], 0x8
	v_lshlrev_b32_e32 v16, 2, v0
	v_mov_b32_e32 v17, 0
	v_or_b32_e32 v22, 1, v16
	v_or_b32_e32 v20, 2, v16
	s_waitcnt lgkmcnt(0)
	s_cmp_eq_u32 s7, 0
	v_or_b32_e32 v18, 3, v16
	s_cbranch_scc1 .LBB79_27
; %bb.1:
	v_mbcnt_lo_u32_b32 v0, -1, 0
	v_mbcnt_hi_u32_b32 v0, -1, v0
	v_and_b32_e32 v1, 3, v0
	v_lshlrev_b32_e32 v2, 2, v0
	v_and_b32_e32 v0, 28, v0
	s_movk_i32 s0, 0x180
	v_and_or_b32 v26, v2, s0, v0
	v_cmp_eq_u32_e32 vcc, 0, v1
	v_cmp_eq_u32_e64 s[0:1], 1, v1
	v_cmp_eq_u32_e64 s[2:3], 2, v1
	;; [unrolled: 1-line block ×3, first 2 shown]
	v_or_b32_e32 v27, 32, v26
	v_or_b32_e32 v28, 64, v26
	;; [unrolled: 1-line block ×3, first 2 shown]
	v_mov_b32_e32 v30, 0
	v_mov_b32_e32 v31, 0
	;; [unrolled: 1-line block ×12, first 2 shown]
	s_branch .LBB79_3
.LBB79_2:                               ;   in Loop: Header=BB79_3 Depth=1
	s_or_b64 exec, exec, s[10:11]
	s_add_i32 s7, s7, -1
	s_cmp_lg_u32 s7, 0
	s_waitcnt lgkmcnt(3)
	v_mov_b32_e32 v18, v12
	v_mov_b32_e32 v17, v13
	;; [unrolled: 1-line block ×4, first 2 shown]
	s_waitcnt lgkmcnt(1)
	v_mov_b32_e32 v20, v8
	v_mov_b32_e32 v19, v9
	;; [unrolled: 1-line block ×5, first 2 shown]
	s_waitcnt lgkmcnt(0)
	v_mov_b32_e32 v21, v5
	v_mov_b32_e32 v24, v6
	v_mov_b32_e32 v25, v7
	v_mov_b32_e32 v23, v0
	v_mov_b32_e32 v34, v1
	v_mov_b32_e32 v35, v2
	v_mov_b32_e32 v36, v3
	; wave barrier
	s_cbranch_scc0 .LBB79_28
.LBB79_3:                               ; =>This Inner Loop Header: Depth=1
	ds_bpermute_b32 v0, v26, v23
	ds_bpermute_b32 v1, v26, v34
	;; [unrolled: 1-line block ×4, first 2 shown]
	s_and_saveexec_b64 s[10:11], vcc
	s_or_b64 exec, exec, s[10:11]
	ds_bpermute_b32 v4, v26, v22
	ds_bpermute_b32 v5, v26, v21
	;; [unrolled: 1-line block ×4, first 2 shown]
	s_and_saveexec_b64 s[10:11], s[0:1]
	s_cbranch_execz .LBB79_5
; %bb.4:                                ;   in Loop: Header=BB79_3 Depth=1
	s_waitcnt lgkmcnt(2)
	v_pk_mov_b32 v[0:1], v[4:5], v[4:5] op_sel:[0,1]
	s_waitcnt lgkmcnt(0)
	v_pk_mov_b32 v[2:3], v[6:7], v[6:7] op_sel:[0,1]
.LBB79_5:                               ;   in Loop: Header=BB79_3 Depth=1
	s_or_b64 exec, exec, s[10:11]
	s_waitcnt lgkmcnt(3)
	ds_bpermute_b32 v4, v26, v20
	s_waitcnt lgkmcnt(3)
	ds_bpermute_b32 v5, v26, v19
	s_waitcnt lgkmcnt(3)
	ds_bpermute_b32 v6, v26, v32
	s_waitcnt lgkmcnt(3)
	ds_bpermute_b32 v7, v26, v33
	s_and_saveexec_b64 s[10:11], s[2:3]
	s_cbranch_execz .LBB79_7
; %bb.6:                                ;   in Loop: Header=BB79_3 Depth=1
	s_waitcnt lgkmcnt(2)
	v_pk_mov_b32 v[0:1], v[4:5], v[4:5] op_sel:[0,1]
	s_waitcnt lgkmcnt(0)
	v_pk_mov_b32 v[2:3], v[6:7], v[6:7] op_sel:[0,1]
.LBB79_7:                               ;   in Loop: Header=BB79_3 Depth=1
	s_or_b64 exec, exec, s[10:11]
	s_waitcnt lgkmcnt(3)
	ds_bpermute_b32 v4, v26, v18
	s_waitcnt lgkmcnt(3)
	ds_bpermute_b32 v5, v26, v17
	s_waitcnt lgkmcnt(3)
	ds_bpermute_b32 v6, v26, v30
	s_waitcnt lgkmcnt(3)
	ds_bpermute_b32 v7, v26, v31
	;; [unrolled: 17-line block ×3, first 2 shown]
	s_and_saveexec_b64 s[10:11], vcc
	s_or_b64 exec, exec, s[10:11]
	ds_bpermute_b32 v8, v27, v22
	ds_bpermute_b32 v9, v27, v21
	;; [unrolled: 1-line block ×4, first 2 shown]
	s_and_saveexec_b64 s[10:11], s[0:1]
	s_cbranch_execz .LBB79_11
; %bb.10:                               ;   in Loop: Header=BB79_3 Depth=1
	s_waitcnt lgkmcnt(2)
	v_pk_mov_b32 v[4:5], v[8:9], v[8:9] op_sel:[0,1]
	s_waitcnt lgkmcnt(0)
	v_pk_mov_b32 v[6:7], v[10:11], v[10:11] op_sel:[0,1]
.LBB79_11:                              ;   in Loop: Header=BB79_3 Depth=1
	s_or_b64 exec, exec, s[10:11]
	s_waitcnt lgkmcnt(3)
	ds_bpermute_b32 v8, v27, v20
	s_waitcnt lgkmcnt(3)
	ds_bpermute_b32 v9, v27, v19
	s_waitcnt lgkmcnt(3)
	ds_bpermute_b32 v10, v27, v32
	s_waitcnt lgkmcnt(3)
	ds_bpermute_b32 v11, v27, v33
	s_and_saveexec_b64 s[10:11], s[2:3]
	s_cbranch_execz .LBB79_13
; %bb.12:                               ;   in Loop: Header=BB79_3 Depth=1
	s_waitcnt lgkmcnt(2)
	v_pk_mov_b32 v[4:5], v[8:9], v[8:9] op_sel:[0,1]
	s_waitcnt lgkmcnt(0)
	v_pk_mov_b32 v[6:7], v[10:11], v[10:11] op_sel:[0,1]
.LBB79_13:                              ;   in Loop: Header=BB79_3 Depth=1
	s_or_b64 exec, exec, s[10:11]
	s_waitcnt lgkmcnt(3)
	ds_bpermute_b32 v8, v27, v18
	s_waitcnt lgkmcnt(3)
	ds_bpermute_b32 v9, v27, v17
	s_waitcnt lgkmcnt(3)
	ds_bpermute_b32 v10, v27, v30
	s_waitcnt lgkmcnt(3)
	ds_bpermute_b32 v11, v27, v31
	;; [unrolled: 17-line block ×3, first 2 shown]
	s_and_saveexec_b64 s[10:11], vcc
	s_or_b64 exec, exec, s[10:11]
	ds_bpermute_b32 v12, v28, v22
	ds_bpermute_b32 v13, v28, v21
	;; [unrolled: 1-line block ×4, first 2 shown]
	s_and_saveexec_b64 s[10:11], s[0:1]
	s_cbranch_execz .LBB79_17
; %bb.16:                               ;   in Loop: Header=BB79_3 Depth=1
	s_waitcnt lgkmcnt(2)
	v_pk_mov_b32 v[8:9], v[12:13], v[12:13] op_sel:[0,1]
	s_waitcnt lgkmcnt(0)
	v_pk_mov_b32 v[10:11], v[14:15], v[14:15] op_sel:[0,1]
.LBB79_17:                              ;   in Loop: Header=BB79_3 Depth=1
	s_or_b64 exec, exec, s[10:11]
	s_waitcnt lgkmcnt(3)
	ds_bpermute_b32 v12, v28, v20
	s_waitcnt lgkmcnt(3)
	ds_bpermute_b32 v13, v28, v19
	s_waitcnt lgkmcnt(3)
	ds_bpermute_b32 v14, v28, v32
	s_waitcnt lgkmcnt(3)
	ds_bpermute_b32 v15, v28, v33
	s_and_saveexec_b64 s[10:11], s[2:3]
	s_cbranch_execz .LBB79_19
; %bb.18:                               ;   in Loop: Header=BB79_3 Depth=1
	s_waitcnt lgkmcnt(2)
	v_pk_mov_b32 v[8:9], v[12:13], v[12:13] op_sel:[0,1]
	s_waitcnt lgkmcnt(0)
	v_pk_mov_b32 v[10:11], v[14:15], v[14:15] op_sel:[0,1]
.LBB79_19:                              ;   in Loop: Header=BB79_3 Depth=1
	s_or_b64 exec, exec, s[10:11]
	s_waitcnt lgkmcnt(3)
	ds_bpermute_b32 v12, v28, v18
	s_waitcnt lgkmcnt(3)
	ds_bpermute_b32 v13, v28, v17
	s_waitcnt lgkmcnt(3)
	ds_bpermute_b32 v14, v28, v30
	s_waitcnt lgkmcnt(3)
	ds_bpermute_b32 v15, v28, v31
	;; [unrolled: 17-line block ×3, first 2 shown]
	s_and_saveexec_b64 s[10:11], vcc
	s_or_b64 exec, exec, s[10:11]
	ds_bpermute_b32 v22, v29, v22
	ds_bpermute_b32 v23, v29, v21
	;; [unrolled: 1-line block ×4, first 2 shown]
	s_and_saveexec_b64 s[10:11], s[0:1]
	s_cbranch_execz .LBB79_23
; %bb.22:                               ;   in Loop: Header=BB79_3 Depth=1
	s_waitcnt lgkmcnt(2)
	v_pk_mov_b32 v[12:13], v[22:23], v[22:23] op_sel:[0,1]
	s_waitcnt lgkmcnt(0)
	v_pk_mov_b32 v[14:15], v[24:25], v[24:25] op_sel:[0,1]
.LBB79_23:                              ;   in Loop: Header=BB79_3 Depth=1
	s_or_b64 exec, exec, s[10:11]
	ds_bpermute_b32 v20, v29, v20
	ds_bpermute_b32 v21, v29, v19
	s_waitcnt lgkmcnt(5)
	ds_bpermute_b32 v22, v29, v32
	s_waitcnt lgkmcnt(5)
	ds_bpermute_b32 v23, v29, v33
	s_and_saveexec_b64 s[10:11], s[2:3]
	s_cbranch_execz .LBB79_25
; %bb.24:                               ;   in Loop: Header=BB79_3 Depth=1
	s_waitcnt lgkmcnt(2)
	v_pk_mov_b32 v[12:13], v[20:21], v[20:21] op_sel:[0,1]
	s_waitcnt lgkmcnt(0)
	v_pk_mov_b32 v[14:15], v[22:23], v[22:23] op_sel:[0,1]
.LBB79_25:                              ;   in Loop: Header=BB79_3 Depth=1
	s_or_b64 exec, exec, s[10:11]
	ds_bpermute_b32 v18, v29, v18
	ds_bpermute_b32 v19, v29, v17
	s_waitcnt lgkmcnt(5)
	ds_bpermute_b32 v20, v29, v30
	s_waitcnt lgkmcnt(5)
	ds_bpermute_b32 v21, v29, v31
	s_and_saveexec_b64 s[10:11], s[8:9]
	s_cbranch_execz .LBB79_2
; %bb.26:                               ;   in Loop: Header=BB79_3 Depth=1
	s_waitcnt lgkmcnt(2)
	v_pk_mov_b32 v[12:13], v[18:19], v[18:19] op_sel:[0,1]
	s_waitcnt lgkmcnt(0)
	v_pk_mov_b32 v[14:15], v[20:21], v[20:21] op_sel:[0,1]
	s_branch .LBB79_2
.LBB79_27:
	v_pk_mov_b32 v[2:3], 0, 0
	v_mov_b32_e32 v23, v17
	v_mov_b32_e32 v21, v17
	;; [unrolled: 1-line block ×3, first 2 shown]
	v_pk_mov_b32 v[14:15], 0, 0
	v_pk_mov_b32 v[0:1], v[16:17], v[16:17] op_sel:[0,1]
	v_pk_mov_b32 v[4:5], v[22:23], v[22:23] op_sel:[0,1]
	v_pk_mov_b32 v[6:7], v[2:3], v[2:3] op_sel:[0,1]
	v_pk_mov_b32 v[8:9], v[20:21], v[20:21] op_sel:[0,1]
	v_pk_mov_b32 v[10:11], v[2:3], v[2:3] op_sel:[0,1]
	v_pk_mov_b32 v[12:13], v[18:19], v[18:19] op_sel:[0,1]
.LBB79_28:
	s_load_dwordx2 s[0:1], s[4:5], 0x0
	v_lshl_or_b32 v16, s6, 10, v16
	v_mov_b32_e32 v17, 0
	v_lshlrev_b64 v[16:17], 4, v[16:17]
	s_waitcnt lgkmcnt(0)
	v_mov_b32_e32 v18, s1
	v_add_co_u32_e32 v16, vcc, s0, v16
	v_addc_co_u32_e32 v17, vcc, v18, v17, vcc
	global_store_dwordx4 v[16:17], v[0:3], off
	global_store_dwordx4 v[16:17], v[4:7], off offset:16
	global_store_dwordx4 v[16:17], v[8:11], off offset:32
	;; [unrolled: 1-line block ×3, first 2 shown]
	s_endpgm
	.section	.rodata,"a",@progbits
	.p2align	6, 0x0
	.amdhsa_kernel _Z20warp_exchange_kernelILj256ELj4ELj32EN6common25BlockedToStripedShuffleOpEoEvPT3_j
		.amdhsa_group_segment_fixed_size 0
		.amdhsa_private_segment_fixed_size 0
		.amdhsa_kernarg_size 12
		.amdhsa_user_sgpr_count 6
		.amdhsa_user_sgpr_private_segment_buffer 1
		.amdhsa_user_sgpr_dispatch_ptr 0
		.amdhsa_user_sgpr_queue_ptr 0
		.amdhsa_user_sgpr_kernarg_segment_ptr 1
		.amdhsa_user_sgpr_dispatch_id 0
		.amdhsa_user_sgpr_flat_scratch_init 0
		.amdhsa_user_sgpr_kernarg_preload_length 0
		.amdhsa_user_sgpr_kernarg_preload_offset 0
		.amdhsa_user_sgpr_private_segment_size 0
		.amdhsa_uses_dynamic_stack 0
		.amdhsa_system_sgpr_private_segment_wavefront_offset 0
		.amdhsa_system_sgpr_workgroup_id_x 1
		.amdhsa_system_sgpr_workgroup_id_y 0
		.amdhsa_system_sgpr_workgroup_id_z 0
		.amdhsa_system_sgpr_workgroup_info 0
		.amdhsa_system_vgpr_workitem_id 0
		.amdhsa_next_free_vgpr 37
		.amdhsa_next_free_sgpr 12
		.amdhsa_accum_offset 40
		.amdhsa_reserve_vcc 1
		.amdhsa_reserve_flat_scratch 0
		.amdhsa_float_round_mode_32 0
		.amdhsa_float_round_mode_16_64 0
		.amdhsa_float_denorm_mode_32 3
		.amdhsa_float_denorm_mode_16_64 3
		.amdhsa_dx10_clamp 1
		.amdhsa_ieee_mode 1
		.amdhsa_fp16_overflow 0
		.amdhsa_tg_split 0
		.amdhsa_exception_fp_ieee_invalid_op 0
		.amdhsa_exception_fp_denorm_src 0
		.amdhsa_exception_fp_ieee_div_zero 0
		.amdhsa_exception_fp_ieee_overflow 0
		.amdhsa_exception_fp_ieee_underflow 0
		.amdhsa_exception_fp_ieee_inexact 0
		.amdhsa_exception_int_div_zero 0
	.end_amdhsa_kernel
	.section	.text._Z20warp_exchange_kernelILj256ELj4ELj32EN6common25BlockedToStripedShuffleOpEoEvPT3_j,"axG",@progbits,_Z20warp_exchange_kernelILj256ELj4ELj32EN6common25BlockedToStripedShuffleOpEoEvPT3_j,comdat
.Lfunc_end79:
	.size	_Z20warp_exchange_kernelILj256ELj4ELj32EN6common25BlockedToStripedShuffleOpEoEvPT3_j, .Lfunc_end79-_Z20warp_exchange_kernelILj256ELj4ELj32EN6common25BlockedToStripedShuffleOpEoEvPT3_j
                                        ; -- End function
	.section	.AMDGPU.csdata,"",@progbits
; Kernel info:
; codeLenInByte = 1560
; NumSgprs: 16
; NumVgprs: 37
; NumAgprs: 0
; TotalNumVgprs: 37
; ScratchSize: 0
; MemoryBound: 0
; FloatMode: 240
; IeeeMode: 1
; LDSByteSize: 0 bytes/workgroup (compile time only)
; SGPRBlocks: 1
; VGPRBlocks: 4
; NumSGPRsForWavesPerEU: 16
; NumVGPRsForWavesPerEU: 37
; AccumOffset: 40
; Occupancy: 8
; WaveLimiterHint : 0
; COMPUTE_PGM_RSRC2:SCRATCH_EN: 0
; COMPUTE_PGM_RSRC2:USER_SGPR: 6
; COMPUTE_PGM_RSRC2:TRAP_HANDLER: 0
; COMPUTE_PGM_RSRC2:TGID_X_EN: 1
; COMPUTE_PGM_RSRC2:TGID_Y_EN: 0
; COMPUTE_PGM_RSRC2:TGID_Z_EN: 0
; COMPUTE_PGM_RSRC2:TIDIG_COMP_CNT: 0
; COMPUTE_PGM_RSRC3_GFX90A:ACCUM_OFFSET: 9
; COMPUTE_PGM_RSRC3_GFX90A:TG_SPLIT: 0
	.section	.text._Z20warp_exchange_kernelILj256ELj16ELj16EN6common25BlockedToStripedShuffleOpEoEvPT3_j,"axG",@progbits,_Z20warp_exchange_kernelILj256ELj16ELj16EN6common25BlockedToStripedShuffleOpEoEvPT3_j,comdat
	.protected	_Z20warp_exchange_kernelILj256ELj16ELj16EN6common25BlockedToStripedShuffleOpEoEvPT3_j ; -- Begin function _Z20warp_exchange_kernelILj256ELj16ELj16EN6common25BlockedToStripedShuffleOpEoEvPT3_j
	.globl	_Z20warp_exchange_kernelILj256ELj16ELj16EN6common25BlockedToStripedShuffleOpEoEvPT3_j
	.p2align	8
	.type	_Z20warp_exchange_kernelILj256ELj16ELj16EN6common25BlockedToStripedShuffleOpEoEvPT3_j,@function
_Z20warp_exchange_kernelILj256ELj16ELj16EN6common25BlockedToStripedShuffleOpEoEvPT3_j: ; @_Z20warp_exchange_kernelILj256ELj16ELj16EN6common25BlockedToStripedShuffleOpEoEvPT3_j
; %bb.0:
	s_add_u32 s0, s0, s9
	s_load_dword s9, s[4:5], 0x8
	s_addc_u32 s1, s1, 0
	v_lshlrev_b32_e32 v64, 4, v0
	v_or_b32_e32 v56, 1, v64
	v_or_b32_e32 v52, 2, v64
	;; [unrolled: 1-line block ×14, first 2 shown]
	s_waitcnt lgkmcnt(0)
	s_cmp_eq_u32 s9, 0
	v_or_b32_e32 v20, 15, v64
	s_cbranch_scc1 .LBB80_3
; %bb.1:
	v_mbcnt_lo_u32_b32 v1, -1, 0
	v_mbcnt_hi_u32_b32 v1, -1, v1
	v_and_b32_e32 v2, 8, v1
	v_mov_b32_e32 v5, 0x90
	v_cmp_eq_u32_e32 vcc, 0, v2
	v_mov_b32_e32 v6, 0xa0
	v_mov_b32_e32 v10, 0xb0
	;; [unrolled: 1-line block ×9, first 2 shown]
	v_and_b32_e32 v39, 4, v1
	v_lshlrev_b32_e32 v3, 4, v2
	v_cndmask_b32_e32 v2, 16, v5, vcc
	v_cndmask_b32_e32 v7, 32, v6, vcc
	;; [unrolled: 1-line block ×7, first 2 shown]
	v_cmp_eq_u32_e32 vcc, 0, v39
	v_mov_b32_e32 v45, 0x80
	v_and_b32_e32 v51, 2, v1
	v_and_b32_e32 v1, 1, v1
	v_mov_b32_e32 v21, 0
	v_lshlrev_b32_e32 v41, 4, v39
	v_cndmask_b32_e32 v39, 16, v18, vcc
	v_cndmask_b32_e32 v42, 32, v27, vcc
	;; [unrolled: 1-line block ×7, first 2 shown]
	v_lshlrev_b32_e32 v53, 4, v51
	v_cmp_eq_u32_e32 vcc, 0, v51
	v_cmp_eq_u32_e64 s[6:7], 0, v1
	v_lshlrev_b32_e32 v1, 4, v1
	v_mov_b32_e32 v65, v21
	v_xor_b32_e32 v3, 0x80, v3
	v_xor_b32_e32 v41, 64, v41
	;; [unrolled: 1-line block ×3, first 2 shown]
	v_cndmask_b32_e64 v51, 16, 48, vcc
	v_cndmask_b32_e32 v54, 64, v27, vcc
	v_cndmask_b32_e32 v55, v18, v34, vcc
	;; [unrolled: 1-line block ×3, first 2 shown]
	v_cndmask_b32_e64 v58, 32, 48, s[6:7]
	v_cndmask_b32_e64 v27, v27, v34, s[6:7]
	v_cndmask_b32_e32 v34, v5, v10, vcc
	v_cndmask_b32_e64 v5, v45, v5, s[6:7]
	v_cndmask_b32_e32 v45, v14, v30, vcc
	;; [unrolled: 2-line block ×3, first 2 shown]
	v_xor_b32_e32 v1, 16, v1
	v_cndmask_b32_e64 v18, 64, v18, s[6:7]
	v_cndmask_b32_e64 v14, v14, v19, s[6:7]
	;; [unrolled: 1-line block ×3, first 2 shown]
	v_pk_mov_b32 v[22:23], 0, 0
	v_mov_b32_e32 v33, v21
	v_mov_b32_e32 v25, v21
	;; [unrolled: 1-line block ×7, first 2 shown]
	v_add_u32_e32 v66, 0, v3
	v_add_u32_e32 v67, 0, v2
	;; [unrolled: 1-line block ×32, first 2 shown]
	v_pk_mov_b32 v[34:35], 0, 0
	v_pk_mov_b32 v[26:27], 0, 0
	;; [unrolled: 1-line block ×7, first 2 shown]
	v_mov_b32_e32 v1, v21
	v_pk_mov_b32 v[2:3], 0, 0
	v_mov_b32_e32 v5, v21
	v_pk_mov_b32 v[6:7], 0, 0
	;; [unrolled: 2-line block ×7, first 2 shown]
	v_pk_mov_b32 v[62:63], 0, 0
	v_pk_mov_b32 v[60:61], v[64:65], v[64:65] op_sel:[0,1]
.LBB80_2:                               ; =>This Inner Loop Header: Depth=1
	s_waitcnt vmcnt(62)
	buffer_store_dword v61, off, s[0:3], 0 offset:4
	buffer_store_dword v60, off, s[0:3], 0
	buffer_store_dword v63, off, s[0:3], 0 offset:12
	buffer_store_dword v62, off, s[0:3], 0 offset:8
	;; [unrolled: 1-line block ×6, first 2 shown]
	s_waitcnt vmcnt(62)
	buffer_store_dword v53, off, s[0:3], 0 offset:36
	buffer_store_dword v52, off, s[0:3], 0 offset:32
	buffer_store_dword v55, off, s[0:3], 0 offset:44
	buffer_store_dword v54, off, s[0:3], 0 offset:40
	buffer_store_dword v49, off, s[0:3], 0 offset:52
	buffer_store_dword v48, off, s[0:3], 0 offset:48
	buffer_store_dword v51, off, s[0:3], 0 offset:60
	buffer_store_dword v50, off, s[0:3], 0 offset:56
	s_waitcnt vmcnt(62)
	buffer_store_dword v45, off, s[0:3], 0 offset:68
	buffer_store_dword v44, off, s[0:3], 0 offset:64
	;; [unrolled: 1-line block ×16, first 2 shown]
	s_waitcnt vmcnt(62)
	buffer_store_dword v29, off, s[0:3], 0 offset:132
	buffer_store_dword v28, off, s[0:3], 0 offset:128
	buffer_store_dword v31, off, s[0:3], 0 offset:140
	buffer_store_dword v30, off, s[0:3], 0 offset:136
	buffer_store_dword v13, off, s[0:3], 0 offset:148
	buffer_store_dword v12, off, s[0:3], 0 offset:144
	buffer_store_dword v15, off, s[0:3], 0 offset:156
	buffer_store_dword v14, off, s[0:3], 0 offset:152
	buffer_store_dword v17, off, s[0:3], 0 offset:164
	buffer_store_dword v16, off, s[0:3], 0 offset:160
	s_waitcnt vmcnt(62)
	buffer_store_dword v19, off, s[0:3], 0 offset:172
	buffer_store_dword v18, off, s[0:3], 0 offset:168
	;; [unrolled: 1-line block ×6, first 2 shown]
	s_waitcnt vmcnt(62)
	buffer_store_dword v37, off, s[0:3], 0 offset:196
	buffer_store_dword v36, off, s[0:3], 0 offset:192
	s_waitcnt vmcnt(62)
	buffer_store_dword v39, off, s[0:3], 0 offset:204
	buffer_store_dword v38, off, s[0:3], 0 offset:200
	;; [unrolled: 3-line block ×8, first 2 shown]
	buffer_load_dword v0, v66, s[0:3], 0 offen offset:12
	buffer_load_dword v1, v66, s[0:3], 0 offen offset:8
	;; [unrolled: 1-line block ×3, first 2 shown]
	buffer_load_dword v3, v66, s[0:3], 0 offen
	s_add_i32 s9, s9, -1
	s_cmp_lg_u32 s9, 0
	s_waitcnt vmcnt(3)
	ds_swizzle_b32 v0, v0 offset:swizzle(SWAP,8)
	s_waitcnt vmcnt(2)
	ds_swizzle_b32 v1, v1 offset:swizzle(SWAP,8)
	s_waitcnt vmcnt(1)
	ds_swizzle_b32 v2, v2 offset:swizzle(SWAP,8)
	s_waitcnt vmcnt(0)
	ds_swizzle_b32 v3, v3 offset:swizzle(SWAP,8)
	s_waitcnt lgkmcnt(3)
	buffer_store_dword v0, v66, s[0:3], 0 offen offset:12
	s_waitcnt lgkmcnt(2)
	buffer_store_dword v1, v66, s[0:3], 0 offen offset:8
	s_waitcnt lgkmcnt(1)
	buffer_store_dword v2, v66, s[0:3], 0 offen offset:4
	s_waitcnt lgkmcnt(0)
	buffer_store_dword v3, v66, s[0:3], 0 offen
	buffer_load_dword v0, v67, s[0:3], 0 offen offset:12
	buffer_load_dword v1, v67, s[0:3], 0 offen offset:8
	buffer_load_dword v2, v67, s[0:3], 0 offen offset:4
	s_nop 0
	buffer_load_dword v3, v67, s[0:3], 0 offen
	s_waitcnt vmcnt(3)
	ds_swizzle_b32 v0, v0 offset:swizzle(SWAP,8)
	s_waitcnt vmcnt(2)
	ds_swizzle_b32 v1, v1 offset:swizzle(SWAP,8)
	s_waitcnt vmcnt(1)
	ds_swizzle_b32 v2, v2 offset:swizzle(SWAP,8)
	s_waitcnt vmcnt(0)
	ds_swizzle_b32 v3, v3 offset:swizzle(SWAP,8)
	s_waitcnt lgkmcnt(3)
	buffer_store_dword v0, v67, s[0:3], 0 offen offset:12
	s_waitcnt lgkmcnt(2)
	buffer_store_dword v1, v67, s[0:3], 0 offen offset:8
	s_waitcnt lgkmcnt(1)
	buffer_store_dword v2, v67, s[0:3], 0 offen offset:4
	s_waitcnt lgkmcnt(0)
	buffer_store_dword v3, v67, s[0:3], 0 offen
	buffer_load_dword v0, v68, s[0:3], 0 offen offset:12
	buffer_load_dword v1, v68, s[0:3], 0 offen offset:8
	buffer_load_dword v2, v68, s[0:3], 0 offen offset:4
	s_nop 0
	buffer_load_dword v3, v68, s[0:3], 0 offen
	;; [unrolled: 21-line block ×4, first 2 shown]
	s_waitcnt vmcnt(3)
	ds_swizzle_b32 v0, v0 offset:swizzle(SWAP,8)
	s_waitcnt vmcnt(2)
	ds_swizzle_b32 v1, v1 offset:swizzle(SWAP,8)
	;; [unrolled: 2-line block ×4, first 2 shown]
	s_waitcnt lgkmcnt(3)
	buffer_store_dword v0, v70, s[0:3], 0 offen offset:12
	s_waitcnt lgkmcnt(2)
	buffer_store_dword v1, v70, s[0:3], 0 offen offset:8
	;; [unrolled: 2-line block ×3, first 2 shown]
	s_waitcnt lgkmcnt(0)
	buffer_store_dword v3, v70, s[0:3], 0 offen
	buffer_load_dword v0, v71, s[0:3], 0 offen
	buffer_load_dword v1, v71, s[0:3], 0 offen offset:12
	buffer_load_dword v2, v71, s[0:3], 0 offen offset:8
	s_nop 0
	buffer_load_dword v3, v71, s[0:3], 0 offen offset:4
	buffer_load_dword v4, v74, s[0:3], 0 offen
	buffer_load_dword v5, v74, s[0:3], 0 offen offset:12
	s_waitcnt vmcnt(5)
	ds_swizzle_b32 v0, v0 offset:swizzle(SWAP,8)
	s_waitcnt vmcnt(4)
	ds_swizzle_b32 v1, v1 offset:swizzle(SWAP,8)
	;; [unrolled: 2-line block ×6, first 2 shown]
	s_waitcnt lgkmcnt(4)
	buffer_store_dword v1, v71, s[0:3], 0 offen offset:12
	s_waitcnt lgkmcnt(3)
	buffer_store_dword v2, v71, s[0:3], 0 offen offset:8
	;; [unrolled: 2-line block ×3, first 2 shown]
	buffer_store_dword v0, v71, s[0:3], 0 offen
	s_waitcnt lgkmcnt(0)
	buffer_store_dword v5, v74, s[0:3], 0 offen offset:12
	buffer_store_dword v4, v74, s[0:3], 0 offen
	buffer_load_dword v0, v72, s[0:3], 0 offen offset:12
	buffer_load_dword v1, v72, s[0:3], 0 offen offset:8
	;; [unrolled: 1-line block ×3, first 2 shown]
	buffer_load_dword v3, v72, s[0:3], 0 offen
	s_nop 0
	buffer_load_dword v4, v74, s[0:3], 0 offen offset:4
	s_waitcnt vmcnt(4)
	ds_swizzle_b32 v0, v0 offset:swizzle(SWAP,8)
	s_waitcnt vmcnt(3)
	ds_swizzle_b32 v1, v1 offset:swizzle(SWAP,8)
	;; [unrolled: 2-line block ×5, first 2 shown]
	s_waitcnt lgkmcnt(4)
	buffer_store_dword v0, v72, s[0:3], 0 offen offset:12
	s_waitcnt lgkmcnt(3)
	buffer_store_dword v1, v72, s[0:3], 0 offen offset:8
	;; [unrolled: 2-line block ×3, first 2 shown]
	s_waitcnt lgkmcnt(1)
	buffer_store_dword v3, v72, s[0:3], 0 offen
	s_waitcnt lgkmcnt(0)
	buffer_store_dword v4, v74, s[0:3], 0 offen offset:4
	buffer_load_dword v0, v73, s[0:3], 0 offen offset:12
	buffer_load_dword v1, v73, s[0:3], 0 offen offset:8
	;; [unrolled: 1-line block ×3, first 2 shown]
	buffer_load_dword v3, v73, s[0:3], 0 offen
	s_nop 0
	buffer_load_dword v4, v74, s[0:3], 0 offen offset:8
	s_waitcnt vmcnt(4)
	ds_swizzle_b32 v0, v0 offset:swizzle(SWAP,8)
	s_waitcnt vmcnt(3)
	ds_swizzle_b32 v1, v1 offset:swizzle(SWAP,8)
	;; [unrolled: 2-line block ×5, first 2 shown]
	s_waitcnt lgkmcnt(4)
	buffer_store_dword v0, v73, s[0:3], 0 offen offset:12
	s_waitcnt lgkmcnt(3)
	buffer_store_dword v1, v73, s[0:3], 0 offen offset:8
	;; [unrolled: 2-line block ×3, first 2 shown]
	s_waitcnt lgkmcnt(1)
	buffer_store_dword v3, v73, s[0:3], 0 offen
	s_waitcnt lgkmcnt(0)
	buffer_store_dword v4, v74, s[0:3], 0 offen offset:8
	buffer_load_dword v0, v75, s[0:3], 0 offen
	buffer_load_dword v1, v75, s[0:3], 0 offen offset:12
	buffer_load_dword v2, v75, s[0:3], 0 offen offset:8
	buffer_load_dword v3, v75, s[0:3], 0 offen offset:4
	s_nop 0
	buffer_load_dword v4, v78, s[0:3], 0 offen
	buffer_load_dword v5, v78, s[0:3], 0 offen offset:12
	s_waitcnt vmcnt(5)
	ds_swizzle_b32 v0, v0 offset:swizzle(SWAP,4)
	s_waitcnt vmcnt(4)
	ds_swizzle_b32 v1, v1 offset:swizzle(SWAP,4)
	;; [unrolled: 2-line block ×6, first 2 shown]
	s_waitcnt lgkmcnt(4)
	buffer_store_dword v1, v75, s[0:3], 0 offen offset:12
	s_waitcnt lgkmcnt(3)
	buffer_store_dword v2, v75, s[0:3], 0 offen offset:8
	;; [unrolled: 2-line block ×3, first 2 shown]
	buffer_store_dword v0, v75, s[0:3], 0 offen
	s_waitcnt lgkmcnt(0)
	buffer_store_dword v5, v78, s[0:3], 0 offen offset:12
	buffer_store_dword v4, v78, s[0:3], 0 offen
	buffer_load_dword v0, v76, s[0:3], 0 offen offset:12
	buffer_load_dword v1, v76, s[0:3], 0 offen offset:8
	;; [unrolled: 1-line block ×3, first 2 shown]
	buffer_load_dword v3, v76, s[0:3], 0 offen
	s_nop 0
	buffer_load_dword v4, v78, s[0:3], 0 offen offset:4
	s_waitcnt vmcnt(4)
	ds_swizzle_b32 v0, v0 offset:swizzle(SWAP,4)
	s_waitcnt vmcnt(3)
	ds_swizzle_b32 v1, v1 offset:swizzle(SWAP,4)
	;; [unrolled: 2-line block ×5, first 2 shown]
	s_waitcnt lgkmcnt(4)
	buffer_store_dword v0, v76, s[0:3], 0 offen offset:12
	s_waitcnt lgkmcnt(3)
	buffer_store_dword v1, v76, s[0:3], 0 offen offset:8
	s_waitcnt lgkmcnt(2)
	buffer_store_dword v2, v76, s[0:3], 0 offen offset:4
	s_waitcnt lgkmcnt(1)
	buffer_store_dword v3, v76, s[0:3], 0 offen
	s_waitcnt lgkmcnt(0)
	buffer_store_dword v4, v78, s[0:3], 0 offen offset:4
	buffer_load_dword v0, v77, s[0:3], 0 offen
	buffer_load_dword v1, v77, s[0:3], 0 offen offset:12
	buffer_load_dword v2, v77, s[0:3], 0 offen offset:8
	;; [unrolled: 1-line block ×3, first 2 shown]
	s_nop 0
	buffer_load_dword v4, v78, s[0:3], 0 offen offset:8
	buffer_load_dword v5, v82, s[0:3], 0 offen
	s_waitcnt vmcnt(5)
	ds_swizzle_b32 v0, v0 offset:swizzle(SWAP,4)
	s_waitcnt vmcnt(4)
	ds_swizzle_b32 v1, v1 offset:swizzle(SWAP,4)
	;; [unrolled: 2-line block ×6, first 2 shown]
	s_waitcnt lgkmcnt(4)
	buffer_store_dword v1, v77, s[0:3], 0 offen offset:12
	s_waitcnt lgkmcnt(3)
	buffer_store_dword v2, v77, s[0:3], 0 offen offset:8
	;; [unrolled: 2-line block ×3, first 2 shown]
	buffer_store_dword v0, v77, s[0:3], 0 offen
	s_waitcnt lgkmcnt(1)
	buffer_store_dword v4, v78, s[0:3], 0 offen offset:8
	s_waitcnt lgkmcnt(0)
	buffer_store_dword v5, v82, s[0:3], 0 offen
	buffer_load_dword v0, v79, s[0:3], 0 offen
	buffer_load_dword v1, v79, s[0:3], 0 offen offset:12
	buffer_load_dword v2, v79, s[0:3], 0 offen offset:8
	;; [unrolled: 1-line block ×4, first 2 shown]
	buffer_load_dword v5, v84, s[0:3], 0 offen
	s_waitcnt vmcnt(5)
	ds_swizzle_b32 v0, v0 offset:swizzle(SWAP,4)
	s_waitcnt vmcnt(4)
	ds_swizzle_b32 v1, v1 offset:swizzle(SWAP,4)
	;; [unrolled: 2-line block ×6, first 2 shown]
	s_waitcnt lgkmcnt(4)
	buffer_store_dword v1, v79, s[0:3], 0 offen offset:12
	s_waitcnt lgkmcnt(3)
	buffer_store_dword v2, v79, s[0:3], 0 offen offset:8
	;; [unrolled: 2-line block ×3, first 2 shown]
	buffer_store_dword v0, v79, s[0:3], 0 offen
	s_waitcnt lgkmcnt(1)
	buffer_store_dword v4, v82, s[0:3], 0 offen offset:4
	s_waitcnt lgkmcnt(0)
	buffer_store_dword v5, v84, s[0:3], 0 offen
	buffer_load_dword v0, v80, s[0:3], 0 offen
	buffer_load_dword v1, v80, s[0:3], 0 offen offset:12
	buffer_load_dword v2, v80, s[0:3], 0 offen offset:8
	;; [unrolled: 1-line block ×5, first 2 shown]
	s_waitcnt vmcnt(5)
	ds_swizzle_b32 v0, v0 offset:swizzle(SWAP,4)
	s_waitcnt vmcnt(4)
	ds_swizzle_b32 v1, v1 offset:swizzle(SWAP,4)
	;; [unrolled: 2-line block ×6, first 2 shown]
	s_waitcnt lgkmcnt(4)
	buffer_store_dword v1, v80, s[0:3], 0 offen offset:12
	s_waitcnt lgkmcnt(3)
	buffer_store_dword v2, v80, s[0:3], 0 offen offset:8
	s_waitcnt lgkmcnt(2)
	buffer_store_dword v3, v80, s[0:3], 0 offen offset:4
	buffer_store_dword v0, v80, s[0:3], 0 offen
	s_waitcnt lgkmcnt(1)
	buffer_store_dword v4, v82, s[0:3], 0 offen offset:8
	s_waitcnt lgkmcnt(0)
	buffer_store_dword v5, v84, s[0:3], 0 offen offset:4
	buffer_load_dword v0, v81, s[0:3], 0 offen
	buffer_load_dword v1, v81, s[0:3], 0 offen offset:4
	buffer_load_dword v2, v81, s[0:3], 0 offen offset:8
	buffer_load_dword v3, v81, s[0:3], 0 offen offset:12
	buffer_load_dword v4, v82, s[0:3], 0 offen offset:12
	buffer_load_dword v5, v84, s[0:3], 0 offen offset:8
	buffer_load_dword v6, v86, s[0:3], 0 offen
	buffer_load_dword v7, v86, s[0:3], 0 offen offset:12
	s_waitcnt vmcnt(7)
	ds_swizzle_b32 v0, v0 offset:swizzle(SWAP,4)
	s_waitcnt vmcnt(6)
	ds_swizzle_b32 v1, v1 offset:swizzle(SWAP,4)
	s_waitcnt vmcnt(5)
	ds_swizzle_b32 v2, v2 offset:swizzle(SWAP,4)
	s_waitcnt vmcnt(4)
	ds_swizzle_b32 v3, v3 offset:swizzle(SWAP,4)
	s_waitcnt vmcnt(3)
	ds_swizzle_b32 v4, v4 offset:swizzle(SWAP,2)
	s_waitcnt vmcnt(2)
	ds_swizzle_b32 v5, v5 offset:swizzle(SWAP,2)
	s_waitcnt vmcnt(1)
	ds_swizzle_b32 v6, v6 offset:swizzle(SWAP,2)
	s_waitcnt vmcnt(0)
	ds_swizzle_b32 v7, v7 offset:swizzle(SWAP,2)
	s_waitcnt lgkmcnt(4)
	buffer_store_dword v3, v81, s[0:3], 0 offen offset:12
	buffer_store_dword v2, v81, s[0:3], 0 offen offset:8
	buffer_store_dword v1, v81, s[0:3], 0 offen offset:4
	buffer_store_dword v0, v81, s[0:3], 0 offen
	s_waitcnt lgkmcnt(3)
	buffer_store_dword v4, v82, s[0:3], 0 offen offset:12
	s_waitcnt lgkmcnt(2)
	buffer_store_dword v5, v84, s[0:3], 0 offen offset:8
	s_waitcnt lgkmcnt(0)
	buffer_store_dword v7, v86, s[0:3], 0 offen offset:12
	buffer_store_dword v6, v86, s[0:3], 0 offen
	buffer_load_dword v0, v83, s[0:3], 0 offen
	buffer_load_dword v1, v83, s[0:3], 0 offen offset:4
	buffer_load_dword v2, v83, s[0:3], 0 offen offset:8
	buffer_load_dword v3, v83, s[0:3], 0 offen offset:12
	buffer_load_dword v4, v84, s[0:3], 0 offen offset:12
	buffer_load_dword v5, v86, s[0:3], 0 offen offset:4
	buffer_load_dword v6, v88, s[0:3], 0 offen
	buffer_load_dword v7, v88, s[0:3], 0 offen offset:12
	s_waitcnt vmcnt(7)
	ds_swizzle_b32 v0, v0 offset:swizzle(SWAP,2)
	s_waitcnt vmcnt(6)
	ds_swizzle_b32 v1, v1 offset:swizzle(SWAP,2)
	s_waitcnt vmcnt(5)
	ds_swizzle_b32 v2, v2 offset:swizzle(SWAP,2)
	s_waitcnt vmcnt(4)
	ds_swizzle_b32 v3, v3 offset:swizzle(SWAP,2)
	s_waitcnt vmcnt(3)
	ds_swizzle_b32 v4, v4 offset:swizzle(SWAP,2)
	s_waitcnt vmcnt(2)
	ds_swizzle_b32 v5, v5 offset:swizzle(SWAP,2)
	s_waitcnt vmcnt(1)
	ds_swizzle_b32 v6, v6 offset:swizzle(SWAP,2)
	s_waitcnt vmcnt(0)
	ds_swizzle_b32 v7, v7 offset:swizzle(SWAP,2)
	s_waitcnt lgkmcnt(4)
	buffer_store_dword v3, v83, s[0:3], 0 offen offset:12
	buffer_store_dword v2, v83, s[0:3], 0 offen offset:8
	buffer_store_dword v1, v83, s[0:3], 0 offen offset:4
	buffer_store_dword v0, v83, s[0:3], 0 offen
	s_waitcnt lgkmcnt(3)
	buffer_store_dword v4, v84, s[0:3], 0 offen offset:12
	s_waitcnt lgkmcnt(2)
	buffer_store_dword v5, v86, s[0:3], 0 offen offset:4
	s_waitcnt lgkmcnt(0)
	buffer_store_dword v7, v88, s[0:3], 0 offen offset:12
	buffer_store_dword v6, v88, s[0:3], 0 offen
	;; [unrolled: 36-line block ×3, first 2 shown]
	buffer_load_dword v0, v87, s[0:3], 0 offen
	buffer_load_dword v1, v87, s[0:3], 0 offen offset:4
	buffer_load_dword v2, v87, s[0:3], 0 offen offset:8
	;; [unrolled: 1-line block ×5, first 2 shown]
	buffer_load_dword v6, v91, s[0:3], 0 offen
	buffer_load_dword v7, v91, s[0:3], 0 offen offset:8
	buffer_load_dword v8, v92, s[0:3], 0 offen offset:4
	;; [unrolled: 1-line block ×4, first 2 shown]
	buffer_load_dword v11, v93, s[0:3], 0 offen
	buffer_load_dword v12, v93, s[0:3], 0 offen offset:4
	buffer_load_dword v13, v93, s[0:3], 0 offen offset:8
	buffer_load_dword v14, v93, s[0:3], 0 offen offset:12
	s_waitcnt vmcnt(14)
	ds_swizzle_b32 v0, v0 offset:swizzle(SWAP,2)
	s_waitcnt vmcnt(13)
	ds_swizzle_b32 v1, v1 offset:swizzle(SWAP,2)
	;; [unrolled: 2-line block ×8, first 2 shown]
	s_waitcnt lgkmcnt(4)
	buffer_store_dword v3, v87, s[0:3], 0 offen offset:12
	buffer_store_dword v2, v87, s[0:3], 0 offen offset:8
	;; [unrolled: 1-line block ×3, first 2 shown]
	buffer_store_dword v0, v87, s[0:3], 0 offen
	s_waitcnt lgkmcnt(3)
	buffer_store_dword v4, v88, s[0:3], 0 offen offset:8
	s_waitcnt lgkmcnt(2)
	buffer_store_dword v5, v90, s[0:3], 0 offen offset:4
	;; [unrolled: 2-line block ×3, first 2 shown]
	buffer_store_dword v6, v91, s[0:3], 0 offen
	buffer_load_dword v15, v89, s[0:3], 0 offen
	buffer_load_dword v16, v89, s[0:3], 0 offen offset:4
	buffer_load_dword v17, v89, s[0:3], 0 offen offset:8
	;; [unrolled: 1-line block ×6, first 2 shown]
	buffer_load_dword v22, v92, s[0:3], 0 offen
	buffer_load_dword v23, v94, s[0:3], 0 offen
	buffer_load_dword v24, v94, s[0:3], 0 offen offset:4
	buffer_load_dword v25, v94, s[0:3], 0 offen offset:8
	buffer_load_dword v26, v94, s[0:3], 0 offen offset:12
	buffer_load_dword v27, v95, s[0:3], 0 offen
	buffer_load_dword v28, v95, s[0:3], 0 offen offset:4
	buffer_load_dword v29, v95, s[0:3], 0 offen offset:8
	buffer_load_dword v30, v95, s[0:3], 0 offen offset:12
	s_waitcnt vmcnt(28)
	ds_swizzle_b32 v2, v10 offset:swizzle(SWAP,1)
	ds_swizzle_b32 v1, v9 offset:swizzle(SWAP,1)
	s_waitcnt vmcnt(27)
	ds_swizzle_b32 v3, v11 offset:swizzle(SWAP,1)
	ds_swizzle_b32 v0, v8 offset:swizzle(SWAP,1)
	s_waitcnt vmcnt(24)
	ds_swizzle_b32 v5, v14 offset:swizzle(SWAP,1)
	ds_swizzle_b32 v6, v13 offset:swizzle(SWAP,1)
	ds_swizzle_b32 v4, v12 offset:swizzle(SWAP,1)
	s_waitcnt lgkmcnt(6)
	buffer_store_dword v2, v92, s[0:3], 0 offen offset:12
	s_waitcnt lgkmcnt(5)
	buffer_store_dword v1, v92, s[0:3], 0 offen offset:8
	s_waitcnt lgkmcnt(3)
	buffer_store_dword v0, v92, s[0:3], 0 offen offset:4
	s_waitcnt lgkmcnt(2)
	buffer_store_dword v5, v93, s[0:3], 0 offen offset:12
	s_waitcnt lgkmcnt(1)
	buffer_store_dword v6, v93, s[0:3], 0 offen offset:8
	s_waitcnt lgkmcnt(0)
	buffer_store_dword v4, v93, s[0:3], 0 offen offset:4
	buffer_store_dword v3, v93, s[0:3], 0 offen
	buffer_load_dword v4, off, s[0:3], 0 offset:96
	s_nop 0
	buffer_load_dword v5, off, s[0:3], 0 offset:100
	buffer_load_dword v6, off, s[0:3], 0 offset:104
	;; [unrolled: 1-line block ×7, first 2 shown]
	s_waitcnt vmcnt(30)
	ds_swizzle_b32 v8, v15 offset:swizzle(SWAP,2)
	s_waitcnt vmcnt(29)
	ds_swizzle_b32 v9, v16 offset:swizzle(SWAP,2)
	;; [unrolled: 2-line block ×9, first 2 shown]
	s_waitcnt lgkmcnt(5)
	buffer_store_dword v11, v89, s[0:3], 0 offen offset:12
	buffer_store_dword v10, v89, s[0:3], 0 offen offset:8
	;; [unrolled: 1-line block ×3, first 2 shown]
	buffer_store_dword v8, v89, s[0:3], 0 offen
	s_waitcnt lgkmcnt(4)
	buffer_store_dword v12, v90, s[0:3], 0 offen offset:8
	s_waitcnt lgkmcnt(2)
	buffer_store_dword v14, v91, s[0:3], 0 offen offset:12
	buffer_store_dword v13, v91, s[0:3], 0 offen offset:4
	s_waitcnt lgkmcnt(1)
	buffer_store_dword v15, v92, s[0:3], 0 offen
	s_waitcnt lgkmcnt(0)
	buffer_store_dword v16, v94, s[0:3], 0 offen
	buffer_load_dword v20, v96, s[0:3], 0 offen
	buffer_load_dword v21, v96, s[0:3], 0 offen offset:4
	buffer_load_dword v22, v96, s[0:3], 0 offen offset:8
	;; [unrolled: 1-line block ×3, first 2 shown]
	buffer_load_dword v32, v97, s[0:3], 0 offen
	buffer_load_dword v33, v97, s[0:3], 0 offen offset:4
	buffer_load_dword v34, v97, s[0:3], 0 offen offset:8
	;; [unrolled: 1-line block ×3, first 2 shown]
	buffer_load_dword v60, off, s[0:3], 0
	buffer_load_dword v61, off, s[0:3], 0 offset:4
	buffer_load_dword v62, off, s[0:3], 0 offset:8
	;; [unrolled: 1-line block ×23, first 2 shown]
	s_waitcnt vmcnt(60)
	ds_swizzle_b32 v10, v26 offset:swizzle(SWAP,1)
	ds_swizzle_b32 v9, v25 offset:swizzle(SWAP,1)
	;; [unrolled: 1-line block ×3, first 2 shown]
	s_waitcnt vmcnt(56)
	ds_swizzle_b32 v14, v30 offset:swizzle(SWAP,1)
	ds_swizzle_b32 v13, v29 offset:swizzle(SWAP,1)
	;; [unrolled: 1-line block ×4, first 2 shown]
	s_waitcnt lgkmcnt(6)
	buffer_store_dword v10, v94, s[0:3], 0 offen offset:12
	s_waitcnt lgkmcnt(5)
	buffer_store_dword v9, v94, s[0:3], 0 offen offset:8
	;; [unrolled: 2-line block ×6, first 2 shown]
	buffer_store_dword v11, v95, s[0:3], 0 offen
	buffer_load_dword v28, off, s[0:3], 0 offset:128
	buffer_load_dword v29, off, s[0:3], 0 offset:132
	;; [unrolled: 1-line block ×16, first 2 shown]
	s_waitcnt vmcnt(54)
	ds_swizzle_b32 v20, v20 offset:swizzle(SWAP,1)
	s_waitcnt vmcnt(53)
	ds_swizzle_b32 v21, v21 offset:swizzle(SWAP,1)
	;; [unrolled: 2-line block ×8, first 2 shown]
	s_waitcnt lgkmcnt(4)
	buffer_store_dword v23, v96, s[0:3], 0 offen offset:12
	buffer_store_dword v22, v96, s[0:3], 0 offen offset:8
	buffer_store_dword v21, v96, s[0:3], 0 offen offset:4
	buffer_store_dword v20, v96, s[0:3], 0 offen
	s_waitcnt lgkmcnt(0)
	buffer_store_dword v27, v97, s[0:3], 0 offen offset:12
	buffer_store_dword v26, v97, s[0:3], 0 offen offset:8
	;; [unrolled: 1-line block ×3, first 2 shown]
	buffer_store_dword v24, v97, s[0:3], 0 offen
	buffer_load_dword v36, off, s[0:3], 0 offset:192
	buffer_load_dword v37, off, s[0:3], 0 offset:196
	;; [unrolled: 1-line block ×4, first 2 shown]
	s_nop 0
	buffer_load_dword v24, off, s[0:3], 0 offset:208
	buffer_load_dword v25, off, s[0:3], 0 offset:212
	;; [unrolled: 1-line block ×12, first 2 shown]
	; wave barrier
	s_cbranch_scc1 .LBB80_2
	s_branch .LBB80_4
.LBB80_3:
	v_mov_b32_e32 v65, 0
	v_pk_mov_b32 v[22:23], 0, 0
	v_pk_mov_b32 v[62:63], 0, 0
	v_mov_b32_e32 v57, v65
	v_mov_b32_e32 v53, v65
	;; [unrolled: 1-line block ×13, first 2 shown]
	v_pk_mov_b32 v[60:61], v[64:65], v[64:65] op_sel:[0,1]
	v_pk_mov_b32 v[58:59], 0, 0
	v_pk_mov_b32 v[54:55], 0, 0
	;; [unrolled: 1-line block ×12, first 2 shown]
	v_mov_b32_e32 v25, v65
	v_pk_mov_b32 v[26:27], 0, 0
	v_mov_b32_e32 v33, v65
	v_pk_mov_b32 v[34:35], 0, 0
.LBB80_4:
	s_load_dwordx2 s[4:5], s[4:5], 0x0
	v_lshl_or_b32 v64, s8, 12, v64
	v_mov_b32_e32 v65, 0
	v_lshlrev_b64 v[64:65], 4, v[64:65]
	s_waitcnt lgkmcnt(0)
	v_mov_b32_e32 v66, s5
	v_add_co_u32_e32 v64, vcc, s4, v64
	v_addc_co_u32_e32 v65, vcc, v66, v65, vcc
	s_waitcnt vmcnt(62)
	global_store_dwordx4 v[64:65], v[60:63], off
	global_store_dwordx4 v[64:65], v[56:59], off offset:16
	s_waitcnt vmcnt(61)
	global_store_dwordx4 v[64:65], v[52:55], off offset:32
	s_waitcnt vmcnt(58)
	;; [unrolled: 2-line block ×4, first 2 shown]
	global_store_dwordx4 v[64:65], v[40:43], off offset:80
	global_store_dwordx4 v[64:65], v[4:7], off offset:96
	global_store_dwordx4 v[64:65], v[0:3], off offset:112
	s_waitcnt vmcnt(44)
	global_store_dwordx4 v[64:65], v[28:31], off offset:128
	s_waitcnt vmcnt(41)
	global_store_dwordx4 v[64:65], v[12:15], off offset:144
	;; [unrolled: 2-line block ×8, first 2 shown]
	s_endpgm
	.section	.rodata,"a",@progbits
	.p2align	6, 0x0
	.amdhsa_kernel _Z20warp_exchange_kernelILj256ELj16ELj16EN6common25BlockedToStripedShuffleOpEoEvPT3_j
		.amdhsa_group_segment_fixed_size 0
		.amdhsa_private_segment_fixed_size 272
		.amdhsa_kernarg_size 12
		.amdhsa_user_sgpr_count 8
		.amdhsa_user_sgpr_private_segment_buffer 1
		.amdhsa_user_sgpr_dispatch_ptr 0
		.amdhsa_user_sgpr_queue_ptr 0
		.amdhsa_user_sgpr_kernarg_segment_ptr 1
		.amdhsa_user_sgpr_dispatch_id 0
		.amdhsa_user_sgpr_flat_scratch_init 1
		.amdhsa_user_sgpr_kernarg_preload_length 0
		.amdhsa_user_sgpr_kernarg_preload_offset 0
		.amdhsa_user_sgpr_private_segment_size 0
		.amdhsa_uses_dynamic_stack 0
		.amdhsa_system_sgpr_private_segment_wavefront_offset 1
		.amdhsa_system_sgpr_workgroup_id_x 1
		.amdhsa_system_sgpr_workgroup_id_y 0
		.amdhsa_system_sgpr_workgroup_id_z 0
		.amdhsa_system_sgpr_workgroup_info 0
		.amdhsa_system_vgpr_workitem_id 0
		.amdhsa_next_free_vgpr 98
		.amdhsa_next_free_sgpr 10
		.amdhsa_accum_offset 100
		.amdhsa_reserve_vcc 1
		.amdhsa_reserve_flat_scratch 0
		.amdhsa_float_round_mode_32 0
		.amdhsa_float_round_mode_16_64 0
		.amdhsa_float_denorm_mode_32 3
		.amdhsa_float_denorm_mode_16_64 3
		.amdhsa_dx10_clamp 1
		.amdhsa_ieee_mode 1
		.amdhsa_fp16_overflow 0
		.amdhsa_tg_split 0
		.amdhsa_exception_fp_ieee_invalid_op 0
		.amdhsa_exception_fp_denorm_src 0
		.amdhsa_exception_fp_ieee_div_zero 0
		.amdhsa_exception_fp_ieee_overflow 0
		.amdhsa_exception_fp_ieee_underflow 0
		.amdhsa_exception_fp_ieee_inexact 0
		.amdhsa_exception_int_div_zero 0
	.end_amdhsa_kernel
	.section	.text._Z20warp_exchange_kernelILj256ELj16ELj16EN6common25BlockedToStripedShuffleOpEoEvPT3_j,"axG",@progbits,_Z20warp_exchange_kernelILj256ELj16ELj16EN6common25BlockedToStripedShuffleOpEoEvPT3_j,comdat
.Lfunc_end80:
	.size	_Z20warp_exchange_kernelILj256ELj16ELj16EN6common25BlockedToStripedShuffleOpEoEvPT3_j, .Lfunc_end80-_Z20warp_exchange_kernelILj256ELj16ELj16EN6common25BlockedToStripedShuffleOpEoEvPT3_j
                                        ; -- End function
	.section	.AMDGPU.csdata,"",@progbits
; Kernel info:
; codeLenInByte = 6228
; NumSgprs: 14
; NumVgprs: 98
; NumAgprs: 0
; TotalNumVgprs: 98
; ScratchSize: 272
; MemoryBound: 0
; FloatMode: 240
; IeeeMode: 1
; LDSByteSize: 0 bytes/workgroup (compile time only)
; SGPRBlocks: 1
; VGPRBlocks: 12
; NumSGPRsForWavesPerEU: 14
; NumVGPRsForWavesPerEU: 98
; AccumOffset: 100
; Occupancy: 4
; WaveLimiterHint : 0
; COMPUTE_PGM_RSRC2:SCRATCH_EN: 1
; COMPUTE_PGM_RSRC2:USER_SGPR: 8
; COMPUTE_PGM_RSRC2:TRAP_HANDLER: 0
; COMPUTE_PGM_RSRC2:TGID_X_EN: 1
; COMPUTE_PGM_RSRC2:TGID_Y_EN: 0
; COMPUTE_PGM_RSRC2:TGID_Z_EN: 0
; COMPUTE_PGM_RSRC2:TIDIG_COMP_CNT: 0
; COMPUTE_PGM_RSRC3_GFX90A:ACCUM_OFFSET: 24
; COMPUTE_PGM_RSRC3_GFX90A:TG_SPLIT: 0
	.section	.text._Z20warp_exchange_kernelILj256ELj16ELj32EN6common25BlockedToStripedShuffleOpEoEvPT3_j,"axG",@progbits,_Z20warp_exchange_kernelILj256ELj16ELj32EN6common25BlockedToStripedShuffleOpEoEvPT3_j,comdat
	.protected	_Z20warp_exchange_kernelILj256ELj16ELj32EN6common25BlockedToStripedShuffleOpEoEvPT3_j ; -- Begin function _Z20warp_exchange_kernelILj256ELj16ELj32EN6common25BlockedToStripedShuffleOpEoEvPT3_j
	.globl	_Z20warp_exchange_kernelILj256ELj16ELj32EN6common25BlockedToStripedShuffleOpEoEvPT3_j
	.p2align	8
	.type	_Z20warp_exchange_kernelILj256ELj16ELj32EN6common25BlockedToStripedShuffleOpEoEvPT3_j,@function
_Z20warp_exchange_kernelILj256ELj16ELj32EN6common25BlockedToStripedShuffleOpEoEvPT3_j: ; @_Z20warp_exchange_kernelILj256ELj16ELj32EN6common25BlockedToStripedShuffleOpEoEvPT3_j
; %bb.0:
	s_load_dword s6, s[4:5], 0x8
	s_add_u32 s0, s0, s9
	s_addc_u32 s1, s1, 0
	v_lshlrev_b32_e32 v64, 4, v0
	v_or_b32_e32 v56, 1, v64
	v_or_b32_e32 v44, 2, v64
	;; [unrolled: 1-line block ×14, first 2 shown]
	s_waitcnt lgkmcnt(0)
	s_cmp_eq_u32 s6, 0
	v_or_b32_e32 v16, 15, v64
	v_mov_b32_e32 v65, 0
	s_cbranch_scc1 .LBB81_4
; %bb.1:
	v_mbcnt_lo_u32_b32 v2, -1, 0
	v_mbcnt_hi_u32_b32 v2, -1, v2
	v_and_b32_e32 v3, 3, v2
	v_mov_b32_e32 v6, 0
	v_lshl_add_u32 v33, v3, 4, v6
	v_add_u32_e32 v7, -1, v2
	v_xor_b32_e32 v3, 2, v3
	v_and_b32_e32 v7, 3, v7
	v_lshl_add_u32 v67, v3, 4, v6
	v_add_u32_e32 v3, 3, v3
	v_lshl_add_u32 v66, v7, 4, v6
	v_and_b32_e32 v7, 3, v3
	v_lshlrev_b32_e32 v3, 4, v3
	v_lshl_add_u32 v68, v7, 4, v6
	v_or_b32_e32 v6, 64, v3
	v_or_b32_e32 v3, 0xc0, v3
	v_add_u32_e32 v69, 0, v6
	v_add_u32_e32 v70, 0, v3
	v_and_b32_e32 v3, 0x60, v2
	v_add_u32_e32 v6, 28, v2
	v_and_or_b32 v6, v6, 31, v3
	v_lshlrev_b32_e32 v71, 2, v6
	v_add_u32_e32 v6, 24, v2
	v_and_or_b32 v6, v6, 31, v3
	v_lshlrev_b32_e32 v72, 2, v6
	;; [unrolled: 3-line block ×3, first 2 shown]
	v_lshlrev_b32_e32 v6, 2, v2
	v_xor_b32_e32 v74, 64, v6
	v_add_u32_e32 v6, 12, v2
	v_and_or_b32 v6, v6, 31, v3
	v_lshlrev_b32_e32 v75, 2, v6
	v_add_u32_e32 v6, 8, v2
	v_and_or_b32 v6, v6, 31, v3
	v_lshlrev_b32_e32 v76, 2, v6
	;; [unrolled: 3-line block ×3, first 2 shown]
	v_lshrrev_b32_e32 v3, 2, v2
	v_add_u32_e32 v7, -1, v3
	v_mov_b32_e32 v6, 0x100
	v_and_b32_e32 v7, 7, v7
	v_bfe_u32 v2, v2, 2, 3
	v_lshl_add_u32 v79, v7, 4, v6
	v_add_u32_e32 v7, 6, v3
	v_add_u32_e32 v3, 5, v3
	v_lshl_add_u32 v78, v2, 4, v6
	v_and_b32_e32 v3, 7, v3
	v_xor_b32_e32 v2, 4, v2
	v_and_b32_e32 v7, 7, v7
	v_lshl_add_u32 v81, v3, 4, v6
	v_add_u32_e32 v3, 7, v2
	v_lshl_add_u32 v80, v7, 4, v6
	v_and_b32_e32 v7, 7, v3
	v_lshl_add_u32 v83, v7, 4, v6
	v_mov_b32_e32 v7, 0x80
	v_lshl_or_b32 v3, v3, 4, v7
	v_add_u32_e32 v84, 0x100, v3
	v_add_u32_e32 v3, 6, v2
	v_lshl_add_u32 v82, v2, 4, v6
	v_and_b32_e32 v10, 7, v3
	v_lshl_or_b32 v3, v3, 4, v7
	v_add_u32_e32 v2, 5, v2
	v_add_u32_e32 v86, 0x100, v3
	v_and_b32_e32 v3, 7, v2
	v_lshl_or_b32 v2, v2, 4, v7
	v_mov_b32_e32 v17, v65
	v_pk_mov_b32 v[18:19], 0, 0
	v_mov_b32_e32 v29, v65
	v_mov_b32_e32 v49, v65
	;; [unrolled: 1-line block ×8, first 2 shown]
	v_lshl_add_u32 v85, v10, 4, v6
	v_lshl_add_u32 v87, v3, 4, v6
	v_add_u32_e32 v88, 0x100, v2
	v_pk_mov_b32 v[30:31], 0, 0
	v_pk_mov_b32 v[50:51], 0, 0
	;; [unrolled: 1-line block ×8, first 2 shown]
	v_mov_b32_e32 v34, v65
	v_mov_b32_e32 v35, v65
	;; [unrolled: 1-line block ×6, first 2 shown]
	v_pk_mov_b32 v[54:55], 0, 0
	v_mov_b32_e32 v41, v65
	v_mov_b32_e32 v42, v65
	;; [unrolled: 1-line block ×9, first 2 shown]
	v_pk_mov_b32 v[62:63], 0, 0
	v_pk_mov_b32 v[60:61], v[64:65], v[64:65] op_sel:[0,1]
.LBB81_2:                               ; =>This Inner Loop Header: Depth=1
	buffer_store_dword v61, off, s[0:3], 0 offset:4
	buffer_store_dword v60, off, s[0:3], 0
	buffer_store_dword v63, off, s[0:3], 0 offset:12
	buffer_store_dword v62, off, s[0:3], 0 offset:8
	s_waitcnt lgkmcnt(14)
	buffer_store_dword v53, off, s[0:3], 0 offset:68
	buffer_store_dword v52, off, s[0:3], 0 offset:64
	;; [unrolled: 1-line block ×4, first 2 shown]
	s_waitcnt lgkmcnt(10)
	buffer_store_dword v49, off, s[0:3], 0 offset:212
	buffer_store_dword v48, off, s[0:3], 0 offset:208
	s_waitcnt lgkmcnt(8)
	buffer_store_dword v51, off, s[0:3], 0 offset:220
	buffer_store_dword v50, off, s[0:3], 0 offset:216
	;; [unrolled: 3-line block ×3, first 2 shown]
	s_waitcnt lgkmcnt(4)
	buffer_store_dword v31, off, s[0:3], 0 offset:236
	s_waitcnt vmcnt(15)
	v_mov_b32_dpp v28, v56 quad_perm:[3,0,1,2] row_mask:0xf bank_mask:0xf
	v_mov_b32_dpp v48, v59 quad_perm:[3,0,1,2] row_mask:0xf bank_mask:0xf
	v_mov_b32_dpp v29, v57 quad_perm:[3,0,1,2] row_mask:0xf bank_mask:0xf
	v_mov_b32_dpp v31, v58 quad_perm:[3,0,1,2] row_mask:0xf bank_mask:0xf
	buffer_store_dword v48, off, s[0:3], 0 offset:28
	buffer_store_dword v31, off, s[0:3], 0 offset:24
	buffer_store_dword v29, off, s[0:3], 0 offset:20
	buffer_store_dword v28, off, s[0:3], 0 offset:16
	v_mov_b32_dpp v28, v44 quad_perm:[2,3,0,1] row_mask:0xf bank_mask:0xf
	v_mov_b32_dpp v44, v47 quad_perm:[2,3,0,1] row_mask:0xf bank_mask:0xf
	v_mov_b32_dpp v29, v45 quad_perm:[2,3,0,1] row_mask:0xf bank_mask:0xf
	v_mov_b32_dpp v31, v46 quad_perm:[2,3,0,1] row_mask:0xf bank_mask:0xf
	buffer_store_dword v44, off, s[0:3], 0 offset:44
	buffer_store_dword v31, off, s[0:3], 0 offset:40
	buffer_store_dword v29, off, s[0:3], 0 offset:36
	buffer_store_dword v28, off, s[0:3], 0 offset:32
	v_mov_b32_dpp v28, v40 quad_perm:[1,2,3,0] row_mask:0xf bank_mask:0xf
	v_mov_b32_dpp v40, v43 quad_perm:[1,2,3,0] row_mask:0xf bank_mask:0xf
	v_mov_b32_dpp v29, v41 quad_perm:[1,2,3,0] row_mask:0xf bank_mask:0xf
	v_mov_b32_dpp v31, v42 quad_perm:[1,2,3,0] row_mask:0xf bank_mask:0xf
	buffer_store_dword v40, off, s[0:3], 0 offset:60
	buffer_store_dword v31, off, s[0:3], 0 offset:56
	buffer_store_dword v29, off, s[0:3], 0 offset:52
	buffer_store_dword v28, off, s[0:3], 0 offset:48
	v_mov_b32_dpp v28, v36 quad_perm:[3,0,1,2] row_mask:0xf bank_mask:0xf
	v_mov_b32_dpp v36, v39 quad_perm:[3,0,1,2] row_mask:0xf bank_mask:0xf
	v_mov_b32_dpp v29, v37 quad_perm:[3,0,1,2] row_mask:0xf bank_mask:0xf
	v_mov_b32_dpp v31, v38 quad_perm:[3,0,1,2] row_mask:0xf bank_mask:0xf
	buffer_store_dword v36, off, s[0:3], 0 offset:92
	buffer_store_dword v31, off, s[0:3], 0 offset:88
	buffer_store_dword v29, off, s[0:3], 0 offset:84
	buffer_store_dword v28, off, s[0:3], 0 offset:80
	v_mov_b32_dpp v28, v32 quad_perm:[2,3,0,1] row_mask:0xf bank_mask:0xf
	v_mov_b32_dpp v32, v35 quad_perm:[2,3,0,1] row_mask:0xf bank_mask:0xf
	;; [unrolled: 1-line block ×4, first 2 shown]
	buffer_load_dword v34, v68, s[0:3], 0 offen offset:12
	s_nop 0
	buffer_store_dword v32, off, s[0:3], 0 offset:108
	buffer_store_dword v31, off, s[0:3], 0 offset:104
	buffer_load_dword v31, off, s[0:3], 0 offset:208
	s_nop 0
	buffer_load_dword v32, off, s[0:3], 0 offset:212
	buffer_load_dword v35, off, s[0:3], 0 offset:216
	s_nop 0
	buffer_store_dword v29, off, s[0:3], 0 offset:100
	buffer_store_dword v28, off, s[0:3], 0 offset:96
	v_mov_b32_dpp v25, v25 quad_perm:[1,2,3,0] row_mask:0xf bank_mask:0xf
	v_mov_b32_dpp v24, v24 quad_perm:[1,2,3,0] row_mask:0xf bank_mask:0xf
	buffer_load_dword v28, off, s[0:3], 0 offset:220
	v_mov_b32_dpp v27, v27 quad_perm:[1,2,3,0] row_mask:0xf bank_mask:0xf
	buffer_store_dword v25, off, s[0:3], 0 offset:116
	buffer_store_dword v24, off, s[0:3], 0 offset:112
	v_mov_b32_dpp v26, v26 quad_perm:[1,2,3,0] row_mask:0xf bank_mask:0xf
	buffer_load_dword v24, off, s[0:3], 0 offset:224
	s_nop 0
	buffer_store_dword v27, off, s[0:3], 0 offset:124
	buffer_store_dword v26, off, s[0:3], 0 offset:120
	;; [unrolled: 1-line block ×3, first 2 shown]
	buffer_load_dword v25, v69, s[0:3], 0 offen offset:12
	s_nop 0
	buffer_load_dword v26, off, s[0:3], 0 offset:228
	buffer_load_dword v27, off, s[0:3], 0 offset:232
	;; [unrolled: 1-line block ×3, first 2 shown]
	s_waitcnt lgkmcnt(0)
	buffer_store_dword v19, off, s[0:3], 0 offset:252
	buffer_store_dword v18, off, s[0:3], 0 offset:248
	buffer_load_dword v18, off, s[0:3], 0 offset:248
	s_nop 0
	buffer_load_dword v19, off, s[0:3], 0 offset:252
	buffer_load_dword v30, v68, s[0:3], 0 offen
	s_nop 0
	buffer_store_dword v3, off, s[0:3], 0 offset:188
	buffer_store_dword v21, off, s[0:3], 0 offset:196
	;; [unrolled: 1-line block ×7, first 2 shown]
	buffer_load_dword v20, v69, s[0:3], 0 offen
	buffer_load_dword v21, v68, s[0:3], 0 offen offset:8
	v_mov_b32_dpp v16, v16 quad_perm:[1,2,3,0] row_mask:0xf bank_mask:0xf
	v_mov_b32_dpp v17, v17 quad_perm:[1,2,3,0] row_mask:0xf bank_mask:0xf
	;; [unrolled: 1-line block ×6, first 2 shown]
	s_add_i32 s6, s6, -1
	s_cmp_eq_u32 s6, 0
	s_waitcnt vmcnt(29)
	v_mov_b32_dpp v22, v31 quad_perm:[3,0,1,2] row_mask:0xf bank_mask:0xf
	v_mov_b32_dpp v3, v34 quad_perm:[3,0,1,2] row_mask:0xf bank_mask:0xf
	buffer_store_dword v3, off, s[0:3], 0 offset:460
	buffer_load_dword v3, off, s[0:3], 0 offset:460
	s_waitcnt vmcnt(30)
	v_mov_b32_dpp v23, v32 quad_perm:[3,0,1,2] row_mask:0xf bank_mask:0xf
	s_waitcnt vmcnt(29)
	v_mov_b32_dpp v31, v35 quad_perm:[3,0,1,2] row_mask:0xf bank_mask:0xf
	buffer_load_dword v32, v33, s[0:3], 0 offen
	buffer_load_dword v34, v33, s[0:3], 0 offen offset:64
	buffer_load_dword v35, v33, s[0:3], 0 offen offset:76
	buffer_load_dword v36, v66, s[0:3], 0 offen
	s_waitcnt vmcnt(30)
	v_mov_b32_dpp v28, v28 quad_perm:[3,0,1,2] row_mask:0xf bank_mask:0xf
	buffer_store_dword v22, off, s[0:3], 0 offset:208
	buffer_store_dword v23, off, s[0:3], 0 offset:212
	;; [unrolled: 1-line block ×4, first 2 shown]
	s_waitcnt vmcnt(31)
	v_mov_b32_dpp v22, v24 quad_perm:[2,3,0,1] row_mask:0xf bank_mask:0xf
	buffer_load_dword v23, v33, s[0:3], 0 offen offset:4
	buffer_load_dword v24, v69, s[0:3], 0 offen offset:8
	s_waitcnt vmcnt(28)
	v_mov_b32_dpp v26, v26 quad_perm:[2,3,0,1] row_mask:0xf bank_mask:0xf
	buffer_store_dword v25, off, s[0:3], 0 offset:476
	buffer_load_dword v25, off, s[0:3], 0 offset:476
	s_waitcnt vmcnt(24)
	v_mov_b32_dpp v19, v19 quad_perm:[1,2,3,0] row_mask:0xf bank_mask:0xf
	v_mov_b32_dpp v27, v27 quad_perm:[2,3,0,1] row_mask:0xf bank_mask:0xf
	;; [unrolled: 1-line block ×3, first 2 shown]
	buffer_store_dword v22, off, s[0:3], 0 offset:224
	buffer_store_dword v26, off, s[0:3], 0 offset:228
	;; [unrolled: 1-line block ×4, first 2 shown]
	v_mov_b32_dpp v18, v18 quad_perm:[1,2,3,0] row_mask:0xf bank_mask:0xf
	buffer_store_dword v19, off, s[0:3], 0 offset:252
	buffer_store_dword v18, off, s[0:3], 0 offset:248
	;; [unrolled: 1-line block ×4, first 2 shown]
	buffer_load_dword v16, v67, s[0:3], 0 offen offset:200
	s_waitcnt vmcnt(32)
	v_mov_b32_dpp v26, v30 quad_perm:[3,0,1,2] row_mask:0xf bank_mask:0xf
	buffer_store_dword v2, off, s[0:3], 0 offset:184
	buffer_load_dword v2, off, s[0:3], 0 offset:184
	s_nop 0
	buffer_load_dword v17, off, s[0:3], 0 offset:188
	buffer_load_dword v18, v68, s[0:3], 0 offen offset:4
	buffer_load_dword v19, v67, s[0:3], 0 offen offset:204
	;; [unrolled: 1-line block ×3, first 2 shown]
	s_waitcnt vmcnt(29)
	v_mov_b32_dpp v21, v21 quad_perm:[3,0,1,2] row_mask:0xf bank_mask:0xf
	buffer_store_dword v26, off, s[0:3], 0 offset:448
	buffer_load_dword v26, off, s[0:3], 0 offset:448
	s_nop 0
	buffer_store_dword v13, off, s[0:3], 0 offset:132
	buffer_store_dword v12, off, s[0:3], 0 offset:128
	;; [unrolled: 1-line block ×10, first 2 shown]
	v_mov_b32_dpp v7, v7 quad_perm:[2,3,0,1] row_mask:0xf bank_mask:0xf
	buffer_store_dword v9, off, s[0:3], 0 offset:148
	buffer_store_dword v8, off, s[0:3], 0 offset:144
	;; [unrolled: 1-line block ×4, first 2 shown]
	v_mov_b32_dpp v4, v4 quad_perm:[2,3,0,1] row_mask:0xf bank_mask:0xf
	v_mov_b32_dpp v5, v5 quad_perm:[2,3,0,1] row_mask:0xf bank_mask:0xf
	;; [unrolled: 1-line block ×3, first 2 shown]
	buffer_store_dword v7, off, s[0:3], 0 offset:172
	buffer_store_dword v6, off, s[0:3], 0 offset:168
	;; [unrolled: 1-line block ×4, first 2 shown]
	buffer_load_dword v4, v33, s[0:3], 0 offen offset:192
	s_nop 0
	buffer_load_dword v5, v33, s[0:3], 0 offen offset:196
	buffer_load_dword v6, v33, s[0:3], 0 offen offset:200
	;; [unrolled: 1-line block ×7, first 2 shown]
	buffer_load_dword v12, v67, s[0:3], 0 offen
	buffer_load_dword v13, v67, s[0:3], 0 offen offset:4
	buffer_load_dword v14, v67, s[0:3], 0 offen offset:8
	;; [unrolled: 1-line block ×6, first 2 shown]
	buffer_load_dword v30, v70, s[0:3], 0 offen
	v_mov_b32_dpp v0, v0 quad_perm:[1,2,3,0] row_mask:0xf bank_mask:0xf
	v_mov_b32_dpp v1, v1 quad_perm:[1,2,3,0] row_mask:0xf bank_mask:0xf
	buffer_store_dword v0, off, s[0:3], 0 offset:176
	s_waitcnt vmcnt(52)
	v_mov_b32_dpp v25, v25 quad_perm:[3,0,1,2] row_mask:0xf bank_mask:0xf
	s_waitcnt vmcnt(41)
	v_mov_b32_dpp v2, v2 quad_perm:[1,2,3,0] row_mask:0xf bank_mask:0xf
	buffer_store_dword v16, off, s[0:3], 0 offset:440
	buffer_load_dword v16, off, s[0:3], 0 offset:440
	s_waitcnt vmcnt(42)
	v_mov_b32_dpp v17, v17 quad_perm:[1,2,3,0] row_mask:0xf bank_mask:0xf
	buffer_load_dword v0, v66, s[0:3], 0 offen offset:4
	buffer_load_dword v31, v66, s[0:3], 0 offen offset:8
	;; [unrolled: 1-line block ×3, first 2 shown]
	s_nop 0
	buffer_store_dword v1, off, s[0:3], 0 offset:180
	buffer_store_dword v2, off, s[0:3], 0 offset:184
	;; [unrolled: 1-line block ×3, first 2 shown]
	buffer_load_dword v1, v68, s[0:3], 0 offen offset:140
	s_nop 0
	buffer_load_dword v2, v69, s[0:3], 0 offen offset:4
	buffer_load_dword v17, v33, s[0:3], 0 offen offset:8
	;; [unrolled: 1-line block ×19, first 2 shown]
	s_nop 0
	buffer_store_dword v35, off, s[0:3], 0 offset:284
	buffer_store_dword v34, off, s[0:3], 0 offset:272
	buffer_load_dword v35, v68, s[0:3], 0 offen offset:128
	s_waitcnt vmcnt(62)
	v_mov_b32_dpp v18, v18 quad_perm:[3,0,1,2] row_mask:0xf bank_mask:0xf
	buffer_store_dword v20, off, s[0:3], 0 offset:464
	v_mov_b32_dpp v20, v20 quad_perm:[3,0,1,2] row_mask:0xf bank_mask:0xf
	buffer_store_dword v24, off, s[0:3], 0 offset:472
	;; [unrolled: 2-line block ×3, first 2 shown]
	buffer_store_dword v18, off, s[0:3], 0 offset:452
	buffer_store_dword v20, off, s[0:3], 0 offset:464
	;; [unrolled: 1-line block ×3, first 2 shown]
	buffer_load_dword v18, v66, s[0:3], 0 offen offset:64
	s_waitcnt vmcnt(51)
	buffer_store_dword v7, off, s[0:3], 0 offset:316
	buffer_store_dword v6, off, s[0:3], 0 offset:312
	;; [unrolled: 1-line block ×4, first 2 shown]
	s_waitcnt vmcnt(51)
	buffer_store_dword v11, off, s[0:3], 0 offset:380
	buffer_store_dword v8, off, s[0:3], 0 offset:508
	buffer_load_dword v4, off, s[0:3], 0 offset:508
	s_nop 0
	buffer_store_dword v10, off, s[0:3], 0 offset:376
	buffer_store_dword v9, off, s[0:3], 0 offset:372
	s_waitcnt vmcnt(52)
	buffer_store_dword v15, off, s[0:3], 0 offset:396
	buffer_store_dword v14, off, s[0:3], 0 offset:392
	;; [unrolled: 1-line block ×5, first 2 shown]
	buffer_load_dword v5, off, s[0:3], 0 offset:444
	s_waitcnt vmcnt(57)
	buffer_store_dword v27, off, s[0:3], 0 offset:400
	buffer_store_dword v22, off, s[0:3], 0 offset:436
	s_waitcnt vmcnt(58)
	buffer_store_dword v28, off, s[0:3], 0 offset:504
	s_waitcnt vmcnt(58)
	;; [unrolled: 2-line block ×3, first 2 shown]
	buffer_store_dword v30, off, s[0:3], 0 offset:496
	v_mov_b32_dpp v8, v30 quad_perm:[3,0,1,2] row_mask:0xf bank_mask:0xf
	v_mov_b32_dpp v20, v29 quad_perm:[3,0,1,2] row_mask:0xf bank_mask:0xf
	;; [unrolled: 1-line block ×4, first 2 shown]
	s_waitcnt vmcnt(49)
	buffer_store_dword v1, off, s[0:3], 0 offset:492
	buffer_load_dword v1, off, s[0:3], 0 offset:492
	s_nop 0
	buffer_load_dword v9, v33, s[0:3], 0 offen offset:12
	buffer_load_dword v10, v66, s[0:3], 0 offen offset:140
	;; [unrolled: 1-line block ×8, first 2 shown]
	v_mov_b32_dpp v0, v0 quad_perm:[1,2,3,0] row_mask:0xf bank_mask:0xf
	v_mov_b32_dpp v6, v31 quad_perm:[1,2,3,0] row_mask:0xf bank_mask:0xf
	;; [unrolled: 1-line block ×3, first 2 shown]
	buffer_store_dword v7, off, s[0:3], 0 offset:332
	buffer_store_dword v6, off, s[0:3], 0 offset:328
	;; [unrolled: 1-line block ×5, first 2 shown]
	s_waitcnt vmcnt(62)
	buffer_store_dword v2, off, s[0:3], 0 offset:468
	v_mov_b32_dpp v2, v2 quad_perm:[3,0,1,2] row_mask:0xf bank_mask:0xf
	buffer_store_dword v17, off, s[0:3], 0 offset:264
	s_waitcnt vmcnt(62)
	buffer_store_dword v38, off, s[0:3], 0 offset:280
	buffer_store_dword v39, off, s[0:3], 0 offset:276
	s_waitcnt vmcnt(62)
	buffer_store_dword v40, off, s[0:3], 0 offset:412
	buffer_store_dword v41, off, s[0:3], 0 offset:368
	;; [unrolled: 1-line block ×3, first 2 shown]
	v_mov_b32_dpp v2, v16 quad_perm:[2,3,0,1] row_mask:0xf bank_mask:0xf
	buffer_store_dword v2, off, s[0:3], 0 offset:440
	s_waitcnt vmcnt(62)
	buffer_store_dword v43, off, s[0:3], 0 offset:408
	buffer_store_dword v44, off, s[0:3], 0 offset:404
	buffer_store_dword v45, off, s[0:3], 0 offset:300
	s_waitcnt vmcnt(62)
	buffer_store_dword v46, off, s[0:3], 0 offset:296
	buffer_store_dword v47, off, s[0:3], 0 offset:292
	;; [unrolled: 4-line block ×3, first 2 shown]
	s_waitcnt vmcnt(62)
	buffer_store_dword v52, off, s[0:3], 0 offset:420
	buffer_store_dword v42, off, s[0:3], 0 offset:416
	;; [unrolled: 1-line block ×4, first 2 shown]
	s_waitcnt vmcnt(62)
	buffer_store_dword v54, off, s[0:3], 0 offset:484
	buffer_load_dword v2, off, s[0:3], 0 offset:368
	buffer_load_dword v6, off, s[0:3], 0 offset:372
	;; [unrolled: 1-line block ×4, first 2 shown]
	v_mov_b32_dpp v16, v35 quad_perm:[3,0,1,2] row_mask:0xf bank_mask:0xf
	buffer_store_dword v35, off, s[0:3], 0 offset:480
	buffer_load_dword v21, off, s[0:3], 0 offset:384
	buffer_load_dword v22, off, s[0:3], 0 offset:392
	;; [unrolled: 1-line block ×10, first 2 shown]
	v_mov_b32_dpp v20, v53 quad_perm:[3,0,1,2] row_mask:0xf bank_mask:0xf
	v_mov_b32_dpp v17, v54 quad_perm:[3,0,1,2] row_mask:0xf bank_mask:0xf
	buffer_store_dword v20, off, s[0:3], 0 offset:488
	buffer_store_dword v17, off, s[0:3], 0 offset:484
	;; [unrolled: 1-line block ×3, first 2 shown]
	s_waitcnt vmcnt(62)
	v_mov_b32_dpp v4, v4 quad_perm:[3,0,1,2] row_mask:0xf bank_mask:0xf
	buffer_load_dword v16, off, s[0:3], 0 offset:500
	buffer_load_dword v17, off, s[0:3], 0 offset:452
	;; [unrolled: 1-line block ×8, first 2 shown]
	s_waitcnt vmcnt(62)
	v_mov_b32_dpp v5, v5 quad_perm:[2,3,0,1] row_mask:0xf bank_mask:0xf
	buffer_store_dword v4, off, s[0:3], 0 offset:508
	buffer_store_dword v5, off, s[0:3], 0 offset:444
	buffer_load_dword v4, off, s[0:3], 0 offset:444
	s_nop 0
	buffer_load_dword v5, off, s[0:3], 0 offset:456
	buffer_load_dword v42, off, s[0:3], 0 offset:468
	s_waitcnt vmcnt(62)
	v_mov_b32_dpp v10, v10 quad_perm:[1,2,3,0] row_mask:0xf bank_mask:0xf
	buffer_store_dword v25, off, s[0:3], 0 offset:476
	buffer_load_dword v25, off, s[0:3], 0 offset:476
	s_nop 0
	buffer_load_dword v43, off, s[0:3], 0 offset:484
	s_waitcnt vmcnt(62)
	v_mov_b32_dpp v13, v13 quad_perm:[1,2,3,0] row_mask:0xf bank_mask:0xf
	v_mov_b32_dpp v14, v14 quad_perm:[1,2,3,0] row_mask:0xf bank_mask:0xf
	;; [unrolled: 1-line block ×3, first 2 shown]
	buffer_store_dword v1, off, s[0:3], 0 offset:492
	buffer_load_dword v1, off, s[0:3], 0 offset:492
	s_nop 0
	buffer_load_dword v44, off, s[0:3], 0 offset:504
	buffer_load_dword v45, off, s[0:3], 0 offset:508
	s_nop 0
	buffer_store_dword v9, off, s[0:3], 0 offset:268
	buffer_store_dword v0, off, s[0:3], 0 offset:324
	;; [unrolled: 1-line block ×3, first 2 shown]
	v_mov_b32_dpp v0, v18 quad_perm:[1,2,3,0] row_mask:0xf bank_mask:0xf
	s_waitcnt vmcnt(62)
	v_mov_b32_dpp v9, v19 quad_perm:[1,2,3,0] row_mask:0xf bank_mask:0xf
	buffer_load_dword v18, off, s[0:3], 0 offset:388
	buffer_load_dword v19, off, s[0:3], 0 offset:432
	;; [unrolled: 1-line block ×3, first 2 shown]
	v_mov_b32_dpp v15, v15 quad_perm:[1,2,3,0] row_mask:0xf bank_mask:0xf
	buffer_store_dword v14, off, s[0:3], 0 offset:348
	buffer_store_dword v15, off, s[0:3], 0 offset:344
	;; [unrolled: 1-line block ×4, first 2 shown]
	buffer_load_dword v0, off, s[0:3], 0 offset:396
	s_nop 0
	buffer_load_dword v9, off, s[0:3], 0 offset:272
	buffer_load_dword v14, off, s[0:3], 0 offset:276
	;; [unrolled: 1-line block ×8, first 2 shown]
	v_mov_b32_dpp v12, v12 quad_perm:[1,2,3,0] row_mask:0xf bank_mask:0xf
	v_mov_b32_dpp v11, v11 quad_perm:[1,2,3,0] row_mask:0xf bank_mask:0xf
	buffer_store_dword v10, off, s[0:3], 0 offset:364
	buffer_store_dword v11, off, s[0:3], 0 offset:360
	;; [unrolled: 1-line block ×4, first 2 shown]
	buffer_load_dword v10, off, s[0:3], 0 offset:304
	s_nop 0
	buffer_load_dword v11, off, s[0:3], 0 offset:308
	buffer_load_dword v12, off, s[0:3], 0 offset:312
	;; [unrolled: 1-line block ×7, first 2 shown]
	s_waitcnt vmcnt(62)
	v_mov_b32_dpp v21, v21 quad_perm:[2,3,0,1] row_mask:0xf bank_mask:0xf
	v_mov_b32_dpp v22, v22 quad_perm:[2,3,0,1] row_mask:0xf bank_mask:0xf
	s_waitcnt vmcnt(61)
	v_mov_b32_dpp v24, v24 quad_perm:[2,3,0,1] row_mask:0xf bank_mask:0xf
	v_mov_b32_dpp v2, v2 quad_perm:[1,2,3,0] row_mask:0xf bank_mask:0xf
	;; [unrolled: 1-line block ×5, first 2 shown]
	buffer_store_dword v8, off, s[0:3], 0 offset:380
	buffer_store_dword v7, off, s[0:3], 0 offset:376
	;; [unrolled: 1-line block ×4, first 2 shown]
	buffer_load_dword v2, off, s[0:3], 0 offset:336
	s_nop 0
	buffer_load_dword v6, off, s[0:3], 0 offset:340
	buffer_load_dword v7, off, s[0:3], 0 offset:344
	;; [unrolled: 1-line block ×7, first 2 shown]
	s_waitcnt vmcnt(62)
	v_mov_b32_dpp v27, v27 quad_perm:[2,3,0,1] row_mask:0xf bank_mask:0xf
	buffer_store_dword v27, off, s[0:3], 0 offset:404
	buffer_store_dword v24, off, s[0:3], 0 offset:400
	buffer_load_dword v24, off, s[0:3], 0 offset:368
	s_nop 0
	buffer_load_dword v27, off, s[0:3], 0 offset:372
	buffer_load_dword v59, off, s[0:3], 0 offset:376
	;; [unrolled: 1-line block ×5, first 2 shown]
	v_mov_b32_dpp v29, v29 quad_perm:[2,3,0,1] row_mask:0xf bank_mask:0xf
	v_mov_b32_dpp v28, v28 quad_perm:[2,3,0,1] row_mask:0xf bank_mask:0xf
	buffer_store_dword v29, off, s[0:3], 0 offset:412
	buffer_store_dword v28, off, s[0:3], 0 offset:408
	v_mov_b32_dpp v28, v30 quad_perm:[2,3,0,1] row_mask:0xf bank_mask:0xf
	v_mov_b32_dpp v29, v31 quad_perm:[2,3,0,1] row_mask:0xf bank_mask:0xf
	;; [unrolled: 1-line block ×4, first 2 shown]
	buffer_load_dword v35, off, s[0:3], 0 offset:408
	buffer_load_dword v36, off, s[0:3], 0 offset:412
	s_nop 0
	buffer_store_dword v31, off, s[0:3], 0 offset:428
	buffer_store_dword v30, off, s[0:3], 0 offset:424
	buffer_store_dword v29, off, s[0:3], 0 offset:420
	buffer_store_dword v28, off, s[0:3], 0 offset:416
	buffer_load_dword v28, off, s[0:3], 0 offset:416
	s_nop 0
	buffer_load_dword v29, off, s[0:3], 0 offset:420
	buffer_load_dword v30, off, s[0:3], 0 offset:424
	buffer_load_dword v31, off, s[0:3], 0 offset:428
	s_nop 0
	buffer_store_dword v23, off, s[0:3], 0 offset:260
	buffer_store_dword v32, off, s[0:3], 0 offset:256
	s_waitcnt vmcnt(61)
	v_mov_b32_dpp v18, v18 quad_perm:[2,3,0,1] row_mask:0xf bank_mask:0xf
	s_waitcnt vmcnt(60)
	v_mov_b32_dpp v19, v19 quad_perm:[2,3,0,1] row_mask:0xf bank_mask:0xf
	s_waitcnt vmcnt(59)
	v_mov_b32_dpp v23, v34 quad_perm:[2,3,0,1] row_mask:0xf bank_mask:0xf
	buffer_store_dword v23, off, s[0:3], 0 offset:436
	buffer_store_dword v19, off, s[0:3], 0 offset:432
	buffer_load_dword v19, off, s[0:3], 0 offset:432
	s_nop 0
	buffer_load_dword v23, off, s[0:3], 0 offset:436
	s_waitcnt vmcnt(58)
	v_mov_b32_dpp v0, v0 quad_perm:[2,3,0,1] row_mask:0xf bank_mask:0xf
	buffer_store_dword v0, off, s[0:3], 0 offset:396
	buffer_store_dword v22, off, s[0:3], 0 offset:392
	;; [unrolled: 1-line block ×3, first 2 shown]
	s_waitcnt vmcnt(57)
	ds_bpermute_b32 v0, v71, v46
	ds_bpermute_b32 v15, v71, v15
	;; [unrolled: 1-line block ×3, first 2 shown]
	buffer_store_dword v21, off, s[0:3], 0 offset:384
	ds_bpermute_b32 v9, v71, v9
	s_waitcnt lgkmcnt(3)
	buffer_store_dword v0, off, s[0:3], 0 offset:284
	s_waitcnt lgkmcnt(2)
	buffer_store_dword v15, off, s[0:3], 0 offset:280
	s_waitcnt lgkmcnt(1)
	buffer_store_dword v14, off, s[0:3], 0 offset:276
	s_waitcnt vmcnt(57)
	ds_bpermute_b32 v0, v72, v50
	ds_bpermute_b32 v14, v72, v49
	ds_bpermute_b32 v15, v72, v48
	s_waitcnt lgkmcnt(3)
	buffer_store_dword v9, off, s[0:3], 0 offset:272
	ds_bpermute_b32 v9, v72, v47
	s_waitcnt lgkmcnt(3)
	buffer_store_dword v0, off, s[0:3], 0 offset:300
	s_waitcnt lgkmcnt(2)
	buffer_store_dword v14, off, s[0:3], 0 offset:296
	s_waitcnt lgkmcnt(1)
	buffer_store_dword v15, off, s[0:3], 0 offset:292
	s_waitcnt vmcnt(53)
	ds_bpermute_b32 v0, v73, v13
	ds_bpermute_b32 v12, v73, v12
	ds_bpermute_b32 v11, v73, v11
	s_waitcnt lgkmcnt(3)
	buffer_store_dword v9, off, s[0:3], 0 offset:288
	ds_bpermute_b32 v9, v73, v10
	s_waitcnt lgkmcnt(3)
	buffer_store_dword v0, off, s[0:3], 0 offset:316
	s_waitcnt lgkmcnt(2)
	buffer_store_dword v12, off, s[0:3], 0 offset:312
	s_waitcnt lgkmcnt(1)
	buffer_store_dword v11, off, s[0:3], 0 offset:308
	s_waitcnt vmcnt(53)
	ds_bpermute_b32 v0, v74, v54
	ds_bpermute_b32 v10, v74, v53
	ds_bpermute_b32 v11, v74, v52
	s_waitcnt lgkmcnt(3)
	buffer_store_dword v9, off, s[0:3], 0 offset:304
	ds_bpermute_b32 v9, v74, v51
	s_waitcnt lgkmcnt(3)
	buffer_store_dword v0, off, s[0:3], 0 offset:332
	s_waitcnt lgkmcnt(2)
	buffer_store_dword v10, off, s[0:3], 0 offset:328
	;; [unrolled: 2-line block ×3, first 2 shown]
	s_waitcnt vmcnt(49)
	ds_bpermute_b32 v0, v75, v8
	ds_bpermute_b32 v7, v75, v7
	;; [unrolled: 1-line block ×4, first 2 shown]
	s_waitcnt lgkmcnt(4)
	buffer_store_dword v9, off, s[0:3], 0 offset:320
	s_waitcnt lgkmcnt(3)
	buffer_store_dword v0, off, s[0:3], 0 offset:348
	;; [unrolled: 2-line block ×4, first 2 shown]
	s_waitcnt vmcnt(49)
	ds_bpermute_b32 v0, v76, v58
	ds_bpermute_b32 v6, v76, v57
	ds_bpermute_b32 v7, v76, v56
	s_waitcnt lgkmcnt(3)
	buffer_store_dword v2, off, s[0:3], 0 offset:336
	ds_bpermute_b32 v2, v76, v55
	s_waitcnt lgkmcnt(3)
	buffer_store_dword v0, off, s[0:3], 0 offset:364
	s_waitcnt lgkmcnt(2)
	buffer_store_dword v6, off, s[0:3], 0 offset:360
	s_waitcnt lgkmcnt(1)
	buffer_store_dword v7, off, s[0:3], 0 offset:356
	s_waitcnt vmcnt(45)
	ds_bpermute_b32 v0, v77, v62
	ds_bpermute_b32 v6, v77, v59
	ds_bpermute_b32 v7, v77, v27
	s_waitcnt lgkmcnt(3)
	buffer_store_dword v2, off, s[0:3], 0 offset:352
	ds_bpermute_b32 v2, v77, v24
	s_waitcnt lgkmcnt(3)
	buffer_store_dword v0, off, s[0:3], 0 offset:380
	s_waitcnt lgkmcnt(2)
	buffer_store_dword v6, off, s[0:3], 0 offset:376
	s_waitcnt lgkmcnt(1)
	buffer_store_dword v7, off, s[0:3], 0 offset:372
	;; [unrolled: 13-line block ×4, first 2 shown]
	ds_bpermute_b32 v0, v73, v4
	ds_bpermute_b32 v4, v73, v41
	s_waitcnt lgkmcnt(2)
	buffer_store_dword v2, off, s[0:3], 0 offset:416
	s_waitcnt vmcnt(41)
	ds_bpermute_b32 v2, v73, v19
	s_waitcnt vmcnt(40)
	ds_bpermute_b32 v6, v73, v23
	s_waitcnt lgkmcnt(3)
	buffer_store_dword v0, off, s[0:3], 0 offset:444
	s_waitcnt lgkmcnt(2)
	buffer_store_dword v4, off, s[0:3], 0 offset:440
	;; [unrolled: 2-line block ×3, first 2 shown]
	ds_bpermute_b32 v0, v74, v3
	ds_bpermute_b32 v3, v74, v5
	;; [unrolled: 1-line block ×3, first 2 shown]
	buffer_store_dword v2, off, s[0:3], 0 offset:432
	ds_bpermute_b32 v2, v74, v26
	s_waitcnt lgkmcnt(3)
	buffer_store_dword v0, off, s[0:3], 0 offset:460
	s_waitcnt lgkmcnt(2)
	buffer_store_dword v3, off, s[0:3], 0 offset:456
	s_waitcnt lgkmcnt(1)
	buffer_store_dword v4, off, s[0:3], 0 offset:452
	ds_bpermute_b32 v0, v75, v25
	ds_bpermute_b32 v3, v75, v37
	;; [unrolled: 1-line block ×3, first 2 shown]
	s_waitcnt lgkmcnt(3)
	buffer_store_dword v2, off, s[0:3], 0 offset:448
	ds_bpermute_b32 v2, v75, v20
	s_waitcnt lgkmcnt(3)
	buffer_store_dword v0, off, s[0:3], 0 offset:476
	s_waitcnt lgkmcnt(2)
	buffer_store_dword v3, off, s[0:3], 0 offset:472
	;; [unrolled: 2-line block ×3, first 2 shown]
	ds_bpermute_b32 v0, v76, v1
	ds_bpermute_b32 v1, v76, v39
	;; [unrolled: 1-line block ×3, first 2 shown]
	s_waitcnt lgkmcnt(3)
	buffer_store_dword v2, off, s[0:3], 0 offset:464
	ds_bpermute_b32 v2, v76, v38
	s_waitcnt lgkmcnt(3)
	buffer_store_dword v0, off, s[0:3], 0 offset:492
	s_waitcnt lgkmcnt(2)
	buffer_store_dword v1, off, s[0:3], 0 offset:488
	;; [unrolled: 2-line block ×3, first 2 shown]
	ds_bpermute_b32 v0, v77, v45
	ds_bpermute_b32 v1, v77, v44
	;; [unrolled: 1-line block ×4, first 2 shown]
	s_waitcnt lgkmcnt(4)
	buffer_store_dword v2, off, s[0:3], 0 offset:480
	s_waitcnt lgkmcnt(3)
	buffer_store_dword v0, off, s[0:3], 0 offset:508
	;; [unrolled: 2-line block ×5, first 2 shown]
	buffer_load_dword v0, v79, s[0:3], 0 offen
	buffer_load_dword v1, v79, s[0:3], 0 offen offset:4
	buffer_load_dword v2, v79, s[0:3], 0 offen offset:8
	;; [unrolled: 1-line block ×3, first 2 shown]
	s_nop 0
	buffer_load_dword v4, v79, s[0:3], 0 offen offset:128
	buffer_load_dword v5, v79, s[0:3], 0 offen offset:132
	buffer_load_dword v6, v79, s[0:3], 0 offen offset:136
	buffer_load_dword v7, v79, s[0:3], 0 offen offset:140
	buffer_load_dword v8, v80, s[0:3], 0 offen
	buffer_load_dword v9, v80, s[0:3], 0 offen offset:4
	buffer_load_dword v10, v80, s[0:3], 0 offen offset:8
	buffer_load_dword v11, v80, s[0:3], 0 offen offset:12
	buffer_load_dword v12, v80, s[0:3], 0 offen offset:128
	buffer_load_dword v13, v80, s[0:3], 0 offen offset:132
	buffer_load_dword v14, v80, s[0:3], 0 offen offset:136
	buffer_load_dword v15, v80, s[0:3], 0 offen offset:140
	buffer_load_dword v16, v81, s[0:3], 0 offen
	buffer_load_dword v17, v81, s[0:3], 0 offen offset:4
	buffer_load_dword v18, v81, s[0:3], 0 offen offset:8
	buffer_load_dword v19, v81, s[0:3], 0 offen offset:12
	buffer_load_dword v20, v81, s[0:3], 0 offen offset:128
	buffer_load_dword v21, v81, s[0:3], 0 offen offset:132
	buffer_load_dword v22, v81, s[0:3], 0 offen offset:136
	buffer_load_dword v23, v81, s[0:3], 0 offen offset:140
	buffer_load_dword v28, v82, s[0:3], 0 offen
	buffer_load_dword v29, v82, s[0:3], 0 offen offset:4
	buffer_load_dword v30, v82, s[0:3], 0 offen offset:8
	buffer_load_dword v31, v82, s[0:3], 0 offen offset:12
	buffer_load_dword v48, v82, s[0:3], 0 offen offset:128
	buffer_load_dword v49, v82, s[0:3], 0 offen offset:132
	buffer_load_dword v50, v82, s[0:3], 0 offen offset:136
	buffer_load_dword v51, v82, s[0:3], 0 offen offset:140
	buffer_load_dword v56, v83, s[0:3], 0 offen
	buffer_load_dword v57, v83, s[0:3], 0 offen offset:4
	buffer_load_dword v58, v83, s[0:3], 0 offen offset:8
	buffer_load_dword v59, v83, s[0:3], 0 offen offset:12
	buffer_load_dword v89, v84, s[0:3], 0 offen
	buffer_load_dword v90, v84, s[0:3], 0 offen offset:4
	buffer_load_dword v91, v84, s[0:3], 0 offen offset:8
	buffer_load_dword v92, v84, s[0:3], 0 offen offset:12
	buffer_load_dword v93, v85, s[0:3], 0 offen
	buffer_load_dword v94, v85, s[0:3], 0 offen offset:4
	buffer_load_dword v95, v85, s[0:3], 0 offen offset:8
	buffer_load_dword v96, v85, s[0:3], 0 offen offset:12
	;; [unrolled: 4-line block ×4, first 2 shown]
	buffer_load_dword v105, v88, s[0:3], 0 offen
	buffer_load_dword v106, v88, s[0:3], 0 offen offset:4
	buffer_load_dword v60, v78, s[0:3], 0 offen
	buffer_load_dword v61, v78, s[0:3], 0 offen offset:4
	buffer_load_dword v62, v78, s[0:3], 0 offen offset:8
	;; [unrolled: 1-line block ×5, first 2 shown]
	s_waitcnt vmcnt(59)
	ds_bpermute_b32 v44, v77, v0
	s_waitcnt vmcnt(58)
	ds_bpermute_b32 v45, v77, v1
	;; [unrolled: 2-line block ×36, first 2 shown]
	buffer_load_dword v59, v78, s[0:3], 0 offen offset:140
	buffer_load_dword v58, v78, s[0:3], 0 offen offset:136
	;; [unrolled: 1-line block ×4, first 2 shown]
	s_waitcnt vmcnt(27)
	ds_bpermute_b32 v0, v73, v89
	s_waitcnt vmcnt(26)
	ds_bpermute_b32 v1, v73, v90
	;; [unrolled: 2-line block ×18, first 2 shown]
	; wave barrier
	s_waitcnt vmcnt(5)
	ds_bpermute_b32 v18, v71, v107
	s_waitcnt vmcnt(4)
	ds_bpermute_b32 v19, v71, v108
	s_cbranch_scc0 .LBB81_2
; %bb.3:
	s_waitcnt lgkmcnt(14)
	v_mov_b32_e32 v33, v65
	s_branch .LBB81_5
.LBB81_4:
	v_pk_mov_b32 v[18:19], 0, 0
	v_pk_mov_b32 v[62:63], 0, 0
	v_mov_b32_e32 v57, v65
	v_mov_b32_e32 v45, v65
	;; [unrolled: 1-line block ×13, first 2 shown]
	v_pk_mov_b32 v[60:61], v[64:65], v[64:65] op_sel:[0,1]
	v_pk_mov_b32 v[58:59], 0, 0
	v_pk_mov_b32 v[46:47], 0, 0
	;; [unrolled: 1-line block ×12, first 2 shown]
	v_mov_b32_e32 v49, v65
	v_pk_mov_b32 v[50:51], 0, 0
	v_mov_b32_e32 v29, v65
	v_pk_mov_b32 v[30:31], 0, 0
.LBB81_5:
	s_load_dwordx2 s[4:5], s[4:5], 0x0
	v_lshl_or_b32 v64, s8, 12, v64
	v_mov_b32_e32 v65, 0
	v_lshlrev_b64 v[64:65], 4, v[64:65]
	s_waitcnt lgkmcnt(0)
	v_mov_b32_e32 v66, s5
	v_add_co_u32_e32 v64, vcc, s4, v64
	v_addc_co_u32_e32 v65, vcc, v66, v65, vcc
	global_store_dwordx4 v[64:65], v[60:63], off
	s_waitcnt vmcnt(1)
	global_store_dwordx4 v[64:65], v[56:59], off offset:16
	global_store_dwordx4 v[64:65], v[44:47], off offset:32
	;; [unrolled: 1-line block ×15, first 2 shown]
	s_endpgm
	.section	.rodata,"a",@progbits
	.p2align	6, 0x0
	.amdhsa_kernel _Z20warp_exchange_kernelILj256ELj16ELj32EN6common25BlockedToStripedShuffleOpEoEvPT3_j
		.amdhsa_group_segment_fixed_size 0
		.amdhsa_private_segment_fixed_size 528
		.amdhsa_kernarg_size 12
		.amdhsa_user_sgpr_count 8
		.amdhsa_user_sgpr_private_segment_buffer 1
		.amdhsa_user_sgpr_dispatch_ptr 0
		.amdhsa_user_sgpr_queue_ptr 0
		.amdhsa_user_sgpr_kernarg_segment_ptr 1
		.amdhsa_user_sgpr_dispatch_id 0
		.amdhsa_user_sgpr_flat_scratch_init 1
		.amdhsa_user_sgpr_kernarg_preload_length 0
		.amdhsa_user_sgpr_kernarg_preload_offset 0
		.amdhsa_user_sgpr_private_segment_size 0
		.amdhsa_uses_dynamic_stack 0
		.amdhsa_system_sgpr_private_segment_wavefront_offset 1
		.amdhsa_system_sgpr_workgroup_id_x 1
		.amdhsa_system_sgpr_workgroup_id_y 0
		.amdhsa_system_sgpr_workgroup_id_z 0
		.amdhsa_system_sgpr_workgroup_info 0
		.amdhsa_system_vgpr_workitem_id 0
		.amdhsa_next_free_vgpr 109
		.amdhsa_next_free_sgpr 10
		.amdhsa_accum_offset 112
		.amdhsa_reserve_vcc 1
		.amdhsa_reserve_flat_scratch 0
		.amdhsa_float_round_mode_32 0
		.amdhsa_float_round_mode_16_64 0
		.amdhsa_float_denorm_mode_32 3
		.amdhsa_float_denorm_mode_16_64 3
		.amdhsa_dx10_clamp 1
		.amdhsa_ieee_mode 1
		.amdhsa_fp16_overflow 0
		.amdhsa_tg_split 0
		.amdhsa_exception_fp_ieee_invalid_op 0
		.amdhsa_exception_fp_denorm_src 0
		.amdhsa_exception_fp_ieee_div_zero 0
		.amdhsa_exception_fp_ieee_overflow 0
		.amdhsa_exception_fp_ieee_underflow 0
		.amdhsa_exception_fp_ieee_inexact 0
		.amdhsa_exception_int_div_zero 0
	.end_amdhsa_kernel
	.section	.text._Z20warp_exchange_kernelILj256ELj16ELj32EN6common25BlockedToStripedShuffleOpEoEvPT3_j,"axG",@progbits,_Z20warp_exchange_kernelILj256ELj16ELj32EN6common25BlockedToStripedShuffleOpEoEvPT3_j,comdat
.Lfunc_end81:
	.size	_Z20warp_exchange_kernelILj256ELj16ELj32EN6common25BlockedToStripedShuffleOpEoEvPT3_j, .Lfunc_end81-_Z20warp_exchange_kernelILj256ELj16ELj32EN6common25BlockedToStripedShuffleOpEoEvPT3_j
                                        ; -- End function
	.section	.AMDGPU.csdata,"",@progbits
; Kernel info:
; codeLenInByte = 7188
; NumSgprs: 14
; NumVgprs: 109
; NumAgprs: 0
; TotalNumVgprs: 109
; ScratchSize: 528
; MemoryBound: 0
; FloatMode: 240
; IeeeMode: 1
; LDSByteSize: 0 bytes/workgroup (compile time only)
; SGPRBlocks: 1
; VGPRBlocks: 13
; NumSGPRsForWavesPerEU: 14
; NumVGPRsForWavesPerEU: 109
; AccumOffset: 112
; Occupancy: 4
; WaveLimiterHint : 1
; COMPUTE_PGM_RSRC2:SCRATCH_EN: 1
; COMPUTE_PGM_RSRC2:USER_SGPR: 8
; COMPUTE_PGM_RSRC2:TRAP_HANDLER: 0
; COMPUTE_PGM_RSRC2:TGID_X_EN: 1
; COMPUTE_PGM_RSRC2:TGID_Y_EN: 0
; COMPUTE_PGM_RSRC2:TGID_Z_EN: 0
; COMPUTE_PGM_RSRC2:TIDIG_COMP_CNT: 0
; COMPUTE_PGM_RSRC3_GFX90A:ACCUM_OFFSET: 27
; COMPUTE_PGM_RSRC3_GFX90A:TG_SPLIT: 0
	.section	.text._Z20warp_exchange_kernelILj256ELj1ELj16EN6common25StripedToBlockedShuffleOpEoEvPT3_j,"axG",@progbits,_Z20warp_exchange_kernelILj256ELj1ELj16EN6common25StripedToBlockedShuffleOpEoEvPT3_j,comdat
	.protected	_Z20warp_exchange_kernelILj256ELj1ELj16EN6common25StripedToBlockedShuffleOpEoEvPT3_j ; -- Begin function _Z20warp_exchange_kernelILj256ELj1ELj16EN6common25StripedToBlockedShuffleOpEoEvPT3_j
	.globl	_Z20warp_exchange_kernelILj256ELj1ELj16EN6common25StripedToBlockedShuffleOpEoEvPT3_j
	.p2align	8
	.type	_Z20warp_exchange_kernelILj256ELj1ELj16EN6common25StripedToBlockedShuffleOpEoEvPT3_j,@function
_Z20warp_exchange_kernelILj256ELj1ELj16EN6common25StripedToBlockedShuffleOpEoEvPT3_j: ; @_Z20warp_exchange_kernelILj256ELj1ELj16EN6common25StripedToBlockedShuffleOpEoEvPT3_j
; %bb.0:
	s_load_dword s0, s[4:5], 0x8
	v_mov_b32_e32 v5, 0
	s_waitcnt lgkmcnt(0)
	s_cmp_eq_u32 s0, 0
	s_cbranch_scc1 .LBB82_3
; %bb.1:
	v_mbcnt_lo_u32_b32 v1, -1, 0
	v_mbcnt_hi_u32_b32 v1, -1, v1
	v_lshlrev_b32_e32 v1, 2, v1
	v_mov_b32_e32 v2, v0
	v_mov_b32_e32 v3, 0
	;; [unrolled: 1-line block ×3, first 2 shown]
.LBB82_2:                               ; =>This Inner Loop Header: Depth=1
	s_waitcnt lgkmcnt(3)
	ds_bpermute_b32 v2, v1, v2
	s_waitcnt lgkmcnt(3)
	ds_bpermute_b32 v3, v1, v3
	;; [unrolled: 2-line block ×4, first 2 shown]
	s_add_i32 s0, s0, -1
	s_cmp_lg_u32 s0, 0
	; wave barrier
	s_cbranch_scc1 .LBB82_2
	s_branch .LBB82_4
.LBB82_3:
	v_mov_b32_e32 v2, v0
	v_mov_b32_e32 v3, 0
	;; [unrolled: 1-line block ×3, first 2 shown]
.LBB82_4:
	s_load_dwordx2 s[0:1], s[4:5], 0x0
	v_lshl_or_b32 v0, s6, 8, v0
	v_mov_b32_e32 v1, 0
	v_lshlrev_b64 v[0:1], 4, v[0:1]
	s_waitcnt lgkmcnt(0)
	v_mov_b32_e32 v6, s1
	v_add_co_u32_e32 v0, vcc, s0, v0
	v_addc_co_u32_e32 v1, vcc, v6, v1, vcc
	global_store_dwordx4 v[0:1], v[2:5], off
	s_endpgm
	.section	.rodata,"a",@progbits
	.p2align	6, 0x0
	.amdhsa_kernel _Z20warp_exchange_kernelILj256ELj1ELj16EN6common25StripedToBlockedShuffleOpEoEvPT3_j
		.amdhsa_group_segment_fixed_size 0
		.amdhsa_private_segment_fixed_size 0
		.amdhsa_kernarg_size 12
		.amdhsa_user_sgpr_count 6
		.amdhsa_user_sgpr_private_segment_buffer 1
		.amdhsa_user_sgpr_dispatch_ptr 0
		.amdhsa_user_sgpr_queue_ptr 0
		.amdhsa_user_sgpr_kernarg_segment_ptr 1
		.amdhsa_user_sgpr_dispatch_id 0
		.amdhsa_user_sgpr_flat_scratch_init 0
		.amdhsa_user_sgpr_kernarg_preload_length 0
		.amdhsa_user_sgpr_kernarg_preload_offset 0
		.amdhsa_user_sgpr_private_segment_size 0
		.amdhsa_uses_dynamic_stack 0
		.amdhsa_system_sgpr_private_segment_wavefront_offset 0
		.amdhsa_system_sgpr_workgroup_id_x 1
		.amdhsa_system_sgpr_workgroup_id_y 0
		.amdhsa_system_sgpr_workgroup_id_z 0
		.amdhsa_system_sgpr_workgroup_info 0
		.amdhsa_system_vgpr_workitem_id 0
		.amdhsa_next_free_vgpr 7
		.amdhsa_next_free_sgpr 7
		.amdhsa_accum_offset 8
		.amdhsa_reserve_vcc 1
		.amdhsa_reserve_flat_scratch 0
		.amdhsa_float_round_mode_32 0
		.amdhsa_float_round_mode_16_64 0
		.amdhsa_float_denorm_mode_32 3
		.amdhsa_float_denorm_mode_16_64 3
		.amdhsa_dx10_clamp 1
		.amdhsa_ieee_mode 1
		.amdhsa_fp16_overflow 0
		.amdhsa_tg_split 0
		.amdhsa_exception_fp_ieee_invalid_op 0
		.amdhsa_exception_fp_denorm_src 0
		.amdhsa_exception_fp_ieee_div_zero 0
		.amdhsa_exception_fp_ieee_overflow 0
		.amdhsa_exception_fp_ieee_underflow 0
		.amdhsa_exception_fp_ieee_inexact 0
		.amdhsa_exception_int_div_zero 0
	.end_amdhsa_kernel
	.section	.text._Z20warp_exchange_kernelILj256ELj1ELj16EN6common25StripedToBlockedShuffleOpEoEvPT3_j,"axG",@progbits,_Z20warp_exchange_kernelILj256ELj1ELj16EN6common25StripedToBlockedShuffleOpEoEvPT3_j,comdat
.Lfunc_end82:
	.size	_Z20warp_exchange_kernelILj256ELj1ELj16EN6common25StripedToBlockedShuffleOpEoEvPT3_j, .Lfunc_end82-_Z20warp_exchange_kernelILj256ELj1ELj16EN6common25StripedToBlockedShuffleOpEoEvPT3_j
                                        ; -- End function
	.section	.AMDGPU.csdata,"",@progbits
; Kernel info:
; codeLenInByte = 188
; NumSgprs: 11
; NumVgprs: 7
; NumAgprs: 0
; TotalNumVgprs: 7
; ScratchSize: 0
; MemoryBound: 0
; FloatMode: 240
; IeeeMode: 1
; LDSByteSize: 0 bytes/workgroup (compile time only)
; SGPRBlocks: 1
; VGPRBlocks: 0
; NumSGPRsForWavesPerEU: 11
; NumVGPRsForWavesPerEU: 7
; AccumOffset: 8
; Occupancy: 8
; WaveLimiterHint : 0
; COMPUTE_PGM_RSRC2:SCRATCH_EN: 0
; COMPUTE_PGM_RSRC2:USER_SGPR: 6
; COMPUTE_PGM_RSRC2:TRAP_HANDLER: 0
; COMPUTE_PGM_RSRC2:TGID_X_EN: 1
; COMPUTE_PGM_RSRC2:TGID_Y_EN: 0
; COMPUTE_PGM_RSRC2:TGID_Z_EN: 0
; COMPUTE_PGM_RSRC2:TIDIG_COMP_CNT: 0
; COMPUTE_PGM_RSRC3_GFX90A:ACCUM_OFFSET: 1
; COMPUTE_PGM_RSRC3_GFX90A:TG_SPLIT: 0
	.section	.text._Z20warp_exchange_kernelILj256ELj1ELj32EN6common25StripedToBlockedShuffleOpEoEvPT3_j,"axG",@progbits,_Z20warp_exchange_kernelILj256ELj1ELj32EN6common25StripedToBlockedShuffleOpEoEvPT3_j,comdat
	.protected	_Z20warp_exchange_kernelILj256ELj1ELj32EN6common25StripedToBlockedShuffleOpEoEvPT3_j ; -- Begin function _Z20warp_exchange_kernelILj256ELj1ELj32EN6common25StripedToBlockedShuffleOpEoEvPT3_j
	.globl	_Z20warp_exchange_kernelILj256ELj1ELj32EN6common25StripedToBlockedShuffleOpEoEvPT3_j
	.p2align	8
	.type	_Z20warp_exchange_kernelILj256ELj1ELj32EN6common25StripedToBlockedShuffleOpEoEvPT3_j,@function
_Z20warp_exchange_kernelILj256ELj1ELj32EN6common25StripedToBlockedShuffleOpEoEvPT3_j: ; @_Z20warp_exchange_kernelILj256ELj1ELj32EN6common25StripedToBlockedShuffleOpEoEvPT3_j
; %bb.0:
	s_load_dword s0, s[4:5], 0x8
	v_mov_b32_e32 v5, 0
	s_waitcnt lgkmcnt(0)
	s_cmp_eq_u32 s0, 0
	s_cbranch_scc1 .LBB83_3
; %bb.1:
	v_mbcnt_lo_u32_b32 v1, -1, 0
	v_mbcnt_hi_u32_b32 v1, -1, v1
	v_lshlrev_b32_e32 v1, 2, v1
	v_mov_b32_e32 v2, v0
	v_mov_b32_e32 v3, 0
	;; [unrolled: 1-line block ×3, first 2 shown]
.LBB83_2:                               ; =>This Inner Loop Header: Depth=1
	s_waitcnt lgkmcnt(3)
	ds_bpermute_b32 v2, v1, v2
	s_waitcnt lgkmcnt(3)
	ds_bpermute_b32 v3, v1, v3
	s_waitcnt lgkmcnt(3)
	ds_bpermute_b32 v4, v1, v4
	s_waitcnt lgkmcnt(3)
	ds_bpermute_b32 v5, v1, v5
	s_add_i32 s0, s0, -1
	s_cmp_lg_u32 s0, 0
	; wave barrier
	s_cbranch_scc1 .LBB83_2
	s_branch .LBB83_4
.LBB83_3:
	v_mov_b32_e32 v2, v0
	v_mov_b32_e32 v3, 0
	v_mov_b32_e32 v4, 0
.LBB83_4:
	s_load_dwordx2 s[0:1], s[4:5], 0x0
	v_lshl_or_b32 v0, s6, 8, v0
	v_mov_b32_e32 v1, 0
	v_lshlrev_b64 v[0:1], 4, v[0:1]
	s_waitcnt lgkmcnt(0)
	v_mov_b32_e32 v6, s1
	v_add_co_u32_e32 v0, vcc, s0, v0
	v_addc_co_u32_e32 v1, vcc, v6, v1, vcc
	global_store_dwordx4 v[0:1], v[2:5], off
	s_endpgm
	.section	.rodata,"a",@progbits
	.p2align	6, 0x0
	.amdhsa_kernel _Z20warp_exchange_kernelILj256ELj1ELj32EN6common25StripedToBlockedShuffleOpEoEvPT3_j
		.amdhsa_group_segment_fixed_size 0
		.amdhsa_private_segment_fixed_size 0
		.amdhsa_kernarg_size 12
		.amdhsa_user_sgpr_count 6
		.amdhsa_user_sgpr_private_segment_buffer 1
		.amdhsa_user_sgpr_dispatch_ptr 0
		.amdhsa_user_sgpr_queue_ptr 0
		.amdhsa_user_sgpr_kernarg_segment_ptr 1
		.amdhsa_user_sgpr_dispatch_id 0
		.amdhsa_user_sgpr_flat_scratch_init 0
		.amdhsa_user_sgpr_kernarg_preload_length 0
		.amdhsa_user_sgpr_kernarg_preload_offset 0
		.amdhsa_user_sgpr_private_segment_size 0
		.amdhsa_uses_dynamic_stack 0
		.amdhsa_system_sgpr_private_segment_wavefront_offset 0
		.amdhsa_system_sgpr_workgroup_id_x 1
		.amdhsa_system_sgpr_workgroup_id_y 0
		.amdhsa_system_sgpr_workgroup_id_z 0
		.amdhsa_system_sgpr_workgroup_info 0
		.amdhsa_system_vgpr_workitem_id 0
		.amdhsa_next_free_vgpr 7
		.amdhsa_next_free_sgpr 7
		.amdhsa_accum_offset 8
		.amdhsa_reserve_vcc 1
		.amdhsa_reserve_flat_scratch 0
		.amdhsa_float_round_mode_32 0
		.amdhsa_float_round_mode_16_64 0
		.amdhsa_float_denorm_mode_32 3
		.amdhsa_float_denorm_mode_16_64 3
		.amdhsa_dx10_clamp 1
		.amdhsa_ieee_mode 1
		.amdhsa_fp16_overflow 0
		.amdhsa_tg_split 0
		.amdhsa_exception_fp_ieee_invalid_op 0
		.amdhsa_exception_fp_denorm_src 0
		.amdhsa_exception_fp_ieee_div_zero 0
		.amdhsa_exception_fp_ieee_overflow 0
		.amdhsa_exception_fp_ieee_underflow 0
		.amdhsa_exception_fp_ieee_inexact 0
		.amdhsa_exception_int_div_zero 0
	.end_amdhsa_kernel
	.section	.text._Z20warp_exchange_kernelILj256ELj1ELj32EN6common25StripedToBlockedShuffleOpEoEvPT3_j,"axG",@progbits,_Z20warp_exchange_kernelILj256ELj1ELj32EN6common25StripedToBlockedShuffleOpEoEvPT3_j,comdat
.Lfunc_end83:
	.size	_Z20warp_exchange_kernelILj256ELj1ELj32EN6common25StripedToBlockedShuffleOpEoEvPT3_j, .Lfunc_end83-_Z20warp_exchange_kernelILj256ELj1ELj32EN6common25StripedToBlockedShuffleOpEoEvPT3_j
                                        ; -- End function
	.section	.AMDGPU.csdata,"",@progbits
; Kernel info:
; codeLenInByte = 188
; NumSgprs: 11
; NumVgprs: 7
; NumAgprs: 0
; TotalNumVgprs: 7
; ScratchSize: 0
; MemoryBound: 0
; FloatMode: 240
; IeeeMode: 1
; LDSByteSize: 0 bytes/workgroup (compile time only)
; SGPRBlocks: 1
; VGPRBlocks: 0
; NumSGPRsForWavesPerEU: 11
; NumVGPRsForWavesPerEU: 7
; AccumOffset: 8
; Occupancy: 8
; WaveLimiterHint : 0
; COMPUTE_PGM_RSRC2:SCRATCH_EN: 0
; COMPUTE_PGM_RSRC2:USER_SGPR: 6
; COMPUTE_PGM_RSRC2:TRAP_HANDLER: 0
; COMPUTE_PGM_RSRC2:TGID_X_EN: 1
; COMPUTE_PGM_RSRC2:TGID_Y_EN: 0
; COMPUTE_PGM_RSRC2:TGID_Z_EN: 0
; COMPUTE_PGM_RSRC2:TIDIG_COMP_CNT: 0
; COMPUTE_PGM_RSRC3_GFX90A:ACCUM_OFFSET: 1
; COMPUTE_PGM_RSRC3_GFX90A:TG_SPLIT: 0
	.section	.text._Z20warp_exchange_kernelILj256ELj4ELj16EN6common25StripedToBlockedShuffleOpEoEvPT3_j,"axG",@progbits,_Z20warp_exchange_kernelILj256ELj4ELj16EN6common25StripedToBlockedShuffleOpEoEvPT3_j,comdat
	.protected	_Z20warp_exchange_kernelILj256ELj4ELj16EN6common25StripedToBlockedShuffleOpEoEvPT3_j ; -- Begin function _Z20warp_exchange_kernelILj256ELj4ELj16EN6common25StripedToBlockedShuffleOpEoEvPT3_j
	.globl	_Z20warp_exchange_kernelILj256ELj4ELj16EN6common25StripedToBlockedShuffleOpEoEvPT3_j
	.p2align	8
	.type	_Z20warp_exchange_kernelILj256ELj4ELj16EN6common25StripedToBlockedShuffleOpEoEvPT3_j,@function
_Z20warp_exchange_kernelILj256ELj4ELj16EN6common25StripedToBlockedShuffleOpEoEvPT3_j: ; @_Z20warp_exchange_kernelILj256ELj4ELj16EN6common25StripedToBlockedShuffleOpEoEvPT3_j
; %bb.0:
	s_load_dword s6, s[4:5], 0x8
	s_add_u32 s0, s0, s9
	s_addc_u32 s1, s1, 0
	v_lshlrev_b32_e32 v16, 2, v0
	v_or_b32_e32 v12, 1, v16
	v_or_b32_e32 v8, 2, v16
	s_waitcnt lgkmcnt(0)
	s_cmp_eq_u32 s6, 0
	v_or_b32_e32 v4, 3, v16
	s_cbranch_scc1 .LBB84_3
; %bb.1:
	v_mbcnt_lo_u32_b32 v0, -1, 0
	v_mbcnt_hi_u32_b32 v0, -1, v0
	v_and_b32_e32 v1, 0x70, v0
	v_add_u32_e32 v10, 12, v0
	v_and_or_b32 v10, v10, 15, v1
	v_lshlrev_b32_e32 v18, 2, v10
	v_lshlrev_b32_e32 v10, 2, v0
	v_xor_b32_e32 v19, 32, v10
	v_add_u32_e32 v10, 4, v0
	v_and_or_b32 v1, v10, 15, v1
	v_lshlrev_b32_e32 v20, 2, v1
	v_lshrrev_b32_e32 v1, 2, v0
	v_add_u32_e32 v1, -1, v1
	v_bfe_u32 v10, v0, 2, 2
	v_mov_b32_e32 v11, 0
	v_and_b32_e32 v1, 3, v1
	v_lshl_add_u32 v22, v1, 4, v11
	v_xor_b32_e32 v1, 2, v10
	v_lshl_add_u32 v23, v1, 4, v11
	v_add_u32_e32 v1, -1, v1
	v_and_b32_e32 v1, 3, v1
	v_lshl_add_u32 v24, v1, 4, v11
	v_and_b32_e32 v1, 3, v0
	v_add_u32_e32 v0, -1, v0
	v_lshl_add_u32 v21, v10, 4, v11
	v_mov_b32_e32 v10, 64
	v_and_b32_e32 v0, 3, v0
	v_lshl_add_u32 v26, v0, 4, v10
	v_xor_b32_e32 v0, 2, v1
	v_mov_b32_e32 v5, 0
	v_lshl_add_u32 v27, v0, 4, v10
	v_add_u32_e32 v0, -1, v0
	v_mov_b32_e32 v17, v5
	v_and_b32_e32 v0, 3, v0
	v_pk_mov_b32 v[2:3], 0, 0
	v_pk_mov_b32 v[6:7], 0, 0
	v_mov_b32_e32 v9, v5
	v_mov_b32_e32 v13, v5
	v_lshl_add_u32 v25, v1, 4, v10
	v_lshl_add_u32 v28, v0, 4, v10
	v_pk_mov_b32 v[10:11], 0, 0
	v_pk_mov_b32 v[14:15], 0, 0
	v_pk_mov_b32 v[0:1], v[16:17], v[16:17] op_sel:[0,1]
.LBB84_2:                               ; =>This Inner Loop Header: Depth=1
	s_waitcnt vmcnt(3)
	buffer_store_dword v0, off, s[0:3], 0
	s_waitcnt vmcnt(3)
	buffer_store_dword v1, off, s[0:3], 0 offset:4
	s_waitcnt vmcnt(3)
	buffer_store_dword v2, off, s[0:3], 0 offset:8
	;; [unrolled: 2-line block ×3, first 2 shown]
	buffer_store_dword v12, off, s[0:3], 0 offset:16
	buffer_store_dword v13, off, s[0:3], 0 offset:20
	;; [unrolled: 1-line block ×12, first 2 shown]
	ds_bpermute_b32 v12, v18, v12
	ds_bpermute_b32 v13, v18, v13
	;; [unrolled: 1-line block ×12, first 2 shown]
	buffer_store_dword v0, v21, s[0:3], 0 offen
	buffer_store_dword v1, v21, s[0:3], 0 offen offset:4
	buffer_store_dword v2, v21, s[0:3], 0 offen offset:8
	;; [unrolled: 1-line block ×3, first 2 shown]
	s_waitcnt lgkmcnt(11)
	buffer_store_dword v12, v22, s[0:3], 0 offen
	s_waitcnt lgkmcnt(10)
	buffer_store_dword v13, v22, s[0:3], 0 offen offset:4
	s_waitcnt lgkmcnt(9)
	buffer_store_dword v14, v22, s[0:3], 0 offen offset:8
	;; [unrolled: 2-line block ×4, first 2 shown]
	buffer_store_dword v10, v23, s[0:3], 0 offen offset:8
	buffer_store_dword v9, v23, s[0:3], 0 offen offset:4
	buffer_store_dword v8, v23, s[0:3], 0 offen
	s_waitcnt lgkmcnt(0)
	buffer_store_dword v7, v24, s[0:3], 0 offen offset:12
	buffer_store_dword v6, v24, s[0:3], 0 offen offset:8
	;; [unrolled: 1-line block ×3, first 2 shown]
	buffer_store_dword v4, v24, s[0:3], 0 offen
	buffer_load_dword v0, off, s[0:3], 0 offset:16
	buffer_load_dword v1, off, s[0:3], 0 offset:28
	buffer_load_dword v2, off, s[0:3], 0 offset:32
	buffer_load_dword v3, off, s[0:3], 0 offset:24
	s_nop 0
	buffer_load_dword v4, off, s[0:3], 0 offset:20
	buffer_load_dword v5, off, s[0:3], 0 offset:44
	;; [unrolled: 1-line block ×11, first 2 shown]
	buffer_load_dword v15, off, s[0:3], 0
	s_add_i32 s6, s6, -1
	s_cmp_lg_u32 s6, 0
	s_waitcnt vmcnt(3)
	buffer_store_dword v12, v25, s[0:3], 0 offen offset:12
	s_waitcnt vmcnt(3)
	buffer_store_dword v13, v25, s[0:3], 0 offen offset:8
	;; [unrolled: 2-line block ×3, first 2 shown]
	s_waitcnt vmcnt(3)
	buffer_store_dword v15, v25, s[0:3], 0 offen
	ds_bpermute_b32 v1, v20, v1
	ds_bpermute_b32 v0, v20, v0
	;; [unrolled: 1-line block ×12, first 2 shown]
	s_waitcnt lgkmcnt(11)
	v_mov_b32_dpp v1, v1 quad_perm:[3,0,1,2] row_mask:0xf bank_mask:0xf
	s_waitcnt lgkmcnt(10)
	v_mov_b32_dpp v0, v0 quad_perm:[3,0,1,2] row_mask:0xf bank_mask:0xf
	;; [unrolled: 2-line block ×12, first 2 shown]
	buffer_store_dword v1, v26, s[0:3], 0 offen offset:12
	buffer_store_dword v3, v26, s[0:3], 0 offen offset:8
	buffer_store_dword v4, v26, s[0:3], 0 offen offset:4
	buffer_store_dword v0, v26, s[0:3], 0 offen
	buffer_store_dword v5, v27, s[0:3], 0 offen offset:12
	buffer_store_dword v10, v27, s[0:3], 0 offen offset:8
	buffer_store_dword v9, v27, s[0:3], 0 offen offset:4
	buffer_store_dword v2, v27, s[0:3], 0 offen
	;; [unrolled: 4-line block ×3, first 2 shown]
	buffer_load_dword v4, off, s[0:3], 0 offset:80
	buffer_load_dword v5, off, s[0:3], 0 offset:84
	s_nop 0
	buffer_load_dword v6, off, s[0:3], 0 offset:88
	buffer_load_dword v7, off, s[0:3], 0 offset:92
	;; [unrolled: 1-line block ×14, first 2 shown]
	; wave barrier
	s_waitcnt vmcnt(15)
	v_mov_b32_dpp v12, v4 quad_perm:[1,2,3,0] row_mask:0xf bank_mask:0xf
	s_waitcnt vmcnt(14)
	v_mov_b32_dpp v13, v5 quad_perm:[1,2,3,0] row_mask:0xf bank_mask:0xf
	;; [unrolled: 2-line block ×12, first 2 shown]
	s_cbranch_scc1 .LBB84_2
	s_branch .LBB84_4
.LBB84_3:
	v_mov_b32_e32 v17, 0
	v_pk_mov_b32 v[6:7], 0, 0
	v_pk_mov_b32 v[2:3], 0, 0
	v_mov_b32_e32 v13, v17
	v_mov_b32_e32 v9, v17
	;; [unrolled: 1-line block ×3, first 2 shown]
	v_pk_mov_b32 v[0:1], v[16:17], v[16:17] op_sel:[0,1]
	v_pk_mov_b32 v[14:15], 0, 0
	v_pk_mov_b32 v[10:11], 0, 0
.LBB84_4:
	s_load_dwordx2 s[4:5], s[4:5], 0x0
	v_lshl_or_b32 v16, s8, 10, v16
	v_mov_b32_e32 v17, 0
	v_lshlrev_b64 v[16:17], 4, v[16:17]
	s_waitcnt lgkmcnt(0)
	v_mov_b32_e32 v18, s5
	v_add_co_u32_e32 v16, vcc, s4, v16
	v_addc_co_u32_e32 v17, vcc, v18, v17, vcc
	s_waitcnt vmcnt(0)
	global_store_dwordx4 v[16:17], v[0:3], off
	global_store_dwordx4 v[16:17], v[12:15], off offset:16
	global_store_dwordx4 v[16:17], v[8:11], off offset:32
	;; [unrolled: 1-line block ×3, first 2 shown]
	s_endpgm
	.section	.rodata,"a",@progbits
	.p2align	6, 0x0
	.amdhsa_kernel _Z20warp_exchange_kernelILj256ELj4ELj16EN6common25StripedToBlockedShuffleOpEoEvPT3_j
		.amdhsa_group_segment_fixed_size 0
		.amdhsa_private_segment_fixed_size 144
		.amdhsa_kernarg_size 12
		.amdhsa_user_sgpr_count 8
		.amdhsa_user_sgpr_private_segment_buffer 1
		.amdhsa_user_sgpr_dispatch_ptr 0
		.amdhsa_user_sgpr_queue_ptr 0
		.amdhsa_user_sgpr_kernarg_segment_ptr 1
		.amdhsa_user_sgpr_dispatch_id 0
		.amdhsa_user_sgpr_flat_scratch_init 1
		.amdhsa_user_sgpr_kernarg_preload_length 0
		.amdhsa_user_sgpr_kernarg_preload_offset 0
		.amdhsa_user_sgpr_private_segment_size 0
		.amdhsa_uses_dynamic_stack 0
		.amdhsa_system_sgpr_private_segment_wavefront_offset 1
		.amdhsa_system_sgpr_workgroup_id_x 1
		.amdhsa_system_sgpr_workgroup_id_y 0
		.amdhsa_system_sgpr_workgroup_id_z 0
		.amdhsa_system_sgpr_workgroup_info 0
		.amdhsa_system_vgpr_workitem_id 0
		.amdhsa_next_free_vgpr 32
		.amdhsa_next_free_sgpr 10
		.amdhsa_accum_offset 32
		.amdhsa_reserve_vcc 1
		.amdhsa_reserve_flat_scratch 0
		.amdhsa_float_round_mode_32 0
		.amdhsa_float_round_mode_16_64 0
		.amdhsa_float_denorm_mode_32 3
		.amdhsa_float_denorm_mode_16_64 3
		.amdhsa_dx10_clamp 1
		.amdhsa_ieee_mode 1
		.amdhsa_fp16_overflow 0
		.amdhsa_tg_split 0
		.amdhsa_exception_fp_ieee_invalid_op 0
		.amdhsa_exception_fp_denorm_src 0
		.amdhsa_exception_fp_ieee_div_zero 0
		.amdhsa_exception_fp_ieee_overflow 0
		.amdhsa_exception_fp_ieee_underflow 0
		.amdhsa_exception_fp_ieee_inexact 0
		.amdhsa_exception_int_div_zero 0
	.end_amdhsa_kernel
	.section	.text._Z20warp_exchange_kernelILj256ELj4ELj16EN6common25StripedToBlockedShuffleOpEoEvPT3_j,"axG",@progbits,_Z20warp_exchange_kernelILj256ELj4ELj16EN6common25StripedToBlockedShuffleOpEoEvPT3_j,comdat
.Lfunc_end84:
	.size	_Z20warp_exchange_kernelILj256ELj4ELj16EN6common25StripedToBlockedShuffleOpEoEvPT3_j, .Lfunc_end84-_Z20warp_exchange_kernelILj256ELj4ELj16EN6common25StripedToBlockedShuffleOpEoEvPT3_j
                                        ; -- End function
	.section	.AMDGPU.csdata,"",@progbits
; Kernel info:
; codeLenInByte = 1632
; NumSgprs: 14
; NumVgprs: 32
; NumAgprs: 0
; TotalNumVgprs: 32
; ScratchSize: 144
; MemoryBound: 0
; FloatMode: 240
; IeeeMode: 1
; LDSByteSize: 0 bytes/workgroup (compile time only)
; SGPRBlocks: 1
; VGPRBlocks: 3
; NumSGPRsForWavesPerEU: 14
; NumVGPRsForWavesPerEU: 32
; AccumOffset: 32
; Occupancy: 8
; WaveLimiterHint : 0
; COMPUTE_PGM_RSRC2:SCRATCH_EN: 1
; COMPUTE_PGM_RSRC2:USER_SGPR: 8
; COMPUTE_PGM_RSRC2:TRAP_HANDLER: 0
; COMPUTE_PGM_RSRC2:TGID_X_EN: 1
; COMPUTE_PGM_RSRC2:TGID_Y_EN: 0
; COMPUTE_PGM_RSRC2:TGID_Z_EN: 0
; COMPUTE_PGM_RSRC2:TIDIG_COMP_CNT: 0
; COMPUTE_PGM_RSRC3_GFX90A:ACCUM_OFFSET: 7
; COMPUTE_PGM_RSRC3_GFX90A:TG_SPLIT: 0
	.section	.text._Z20warp_exchange_kernelILj256ELj4ELj32EN6common25StripedToBlockedShuffleOpEoEvPT3_j,"axG",@progbits,_Z20warp_exchange_kernelILj256ELj4ELj32EN6common25StripedToBlockedShuffleOpEoEvPT3_j,comdat
	.protected	_Z20warp_exchange_kernelILj256ELj4ELj32EN6common25StripedToBlockedShuffleOpEoEvPT3_j ; -- Begin function _Z20warp_exchange_kernelILj256ELj4ELj32EN6common25StripedToBlockedShuffleOpEoEvPT3_j
	.globl	_Z20warp_exchange_kernelILj256ELj4ELj32EN6common25StripedToBlockedShuffleOpEoEvPT3_j
	.p2align	8
	.type	_Z20warp_exchange_kernelILj256ELj4ELj32EN6common25StripedToBlockedShuffleOpEoEvPT3_j,@function
_Z20warp_exchange_kernelILj256ELj4ELj32EN6common25StripedToBlockedShuffleOpEoEvPT3_j: ; @_Z20warp_exchange_kernelILj256ELj4ELj32EN6common25StripedToBlockedShuffleOpEoEvPT3_j
; %bb.0:
	s_load_dword s7, s[4:5], 0x8
	v_lshlrev_b32_e32 v16, 2, v0
	v_mov_b32_e32 v17, 0
	v_or_b32_e32 v22, 1, v16
	v_or_b32_e32 v20, 2, v16
	s_waitcnt lgkmcnt(0)
	s_cmp_eq_u32 s7, 0
	v_or_b32_e32 v18, 3, v16
	s_cbranch_scc1 .LBB85_27
; %bb.1:
	v_mbcnt_lo_u32_b32 v0, -1, 0
	v_mbcnt_hi_u32_b32 v0, -1, v0
	v_lshlrev_b32_e32 v2, 2, v0
	v_and_b32_e32 v3, 0x60, v0
	v_and_or_b32 v2, v2, 28, v3
	v_and_b32_e32 v1, 31, v0
	v_bfe_u32 v0, v0, 3, 2
	v_lshlrev_b32_e32 v26, 2, v2
	v_cmp_gt_u32_e32 vcc, 8, v1
	v_cmp_eq_u32_e64 s[0:1], 1, v0
	v_cmp_eq_u32_e64 s[2:3], 2, v0
	;; [unrolled: 1-line block ×3, first 2 shown]
	v_or_b32_e32 v27, 4, v26
	v_or_b32_e32 v28, 8, v26
	;; [unrolled: 1-line block ×3, first 2 shown]
	v_mov_b32_e32 v30, 0
	v_mov_b32_e32 v31, 0
	;; [unrolled: 1-line block ×12, first 2 shown]
	s_branch .LBB85_3
.LBB85_2:                               ;   in Loop: Header=BB85_3 Depth=1
	s_or_b64 exec, exec, s[10:11]
	s_add_i32 s7, s7, -1
	s_cmp_lg_u32 s7, 0
	s_waitcnt lgkmcnt(3)
	v_mov_b32_e32 v18, v12
	v_mov_b32_e32 v17, v13
	;; [unrolled: 1-line block ×4, first 2 shown]
	s_waitcnt lgkmcnt(1)
	v_mov_b32_e32 v20, v8
	v_mov_b32_e32 v19, v9
	;; [unrolled: 1-line block ×5, first 2 shown]
	s_waitcnt lgkmcnt(0)
	v_mov_b32_e32 v21, v5
	v_mov_b32_e32 v24, v6
	;; [unrolled: 1-line block ×7, first 2 shown]
	; wave barrier
	s_cbranch_scc0 .LBB85_28
.LBB85_3:                               ; =>This Inner Loop Header: Depth=1
	ds_bpermute_b32 v0, v26, v23
	ds_bpermute_b32 v1, v26, v34
	;; [unrolled: 1-line block ×4, first 2 shown]
	s_and_saveexec_b64 s[10:11], vcc
	s_or_b64 exec, exec, s[10:11]
	ds_bpermute_b32 v4, v26, v22
	ds_bpermute_b32 v5, v26, v21
	;; [unrolled: 1-line block ×4, first 2 shown]
	s_and_saveexec_b64 s[10:11], s[0:1]
	s_cbranch_execz .LBB85_5
; %bb.4:                                ;   in Loop: Header=BB85_3 Depth=1
	s_waitcnt lgkmcnt(2)
	v_pk_mov_b32 v[0:1], v[4:5], v[4:5] op_sel:[0,1]
	s_waitcnt lgkmcnt(0)
	v_pk_mov_b32 v[2:3], v[6:7], v[6:7] op_sel:[0,1]
.LBB85_5:                               ;   in Loop: Header=BB85_3 Depth=1
	s_or_b64 exec, exec, s[10:11]
	s_waitcnt lgkmcnt(3)
	ds_bpermute_b32 v4, v26, v20
	s_waitcnt lgkmcnt(3)
	ds_bpermute_b32 v5, v26, v19
	s_waitcnt lgkmcnt(3)
	ds_bpermute_b32 v6, v26, v32
	s_waitcnt lgkmcnt(3)
	ds_bpermute_b32 v7, v26, v33
	s_and_saveexec_b64 s[10:11], s[2:3]
	s_cbranch_execz .LBB85_7
; %bb.6:                                ;   in Loop: Header=BB85_3 Depth=1
	s_waitcnt lgkmcnt(2)
	v_pk_mov_b32 v[0:1], v[4:5], v[4:5] op_sel:[0,1]
	s_waitcnt lgkmcnt(0)
	v_pk_mov_b32 v[2:3], v[6:7], v[6:7] op_sel:[0,1]
.LBB85_7:                               ;   in Loop: Header=BB85_3 Depth=1
	s_or_b64 exec, exec, s[10:11]
	s_waitcnt lgkmcnt(3)
	ds_bpermute_b32 v4, v26, v18
	s_waitcnt lgkmcnt(3)
	ds_bpermute_b32 v5, v26, v17
	s_waitcnt lgkmcnt(3)
	ds_bpermute_b32 v6, v26, v30
	s_waitcnt lgkmcnt(3)
	ds_bpermute_b32 v7, v26, v31
	;; [unrolled: 17-line block ×3, first 2 shown]
	s_and_saveexec_b64 s[10:11], vcc
	s_or_b64 exec, exec, s[10:11]
	ds_bpermute_b32 v8, v27, v22
	ds_bpermute_b32 v9, v27, v21
	;; [unrolled: 1-line block ×4, first 2 shown]
	s_and_saveexec_b64 s[10:11], s[0:1]
	s_cbranch_execz .LBB85_11
; %bb.10:                               ;   in Loop: Header=BB85_3 Depth=1
	s_waitcnt lgkmcnt(2)
	v_pk_mov_b32 v[4:5], v[8:9], v[8:9] op_sel:[0,1]
	s_waitcnt lgkmcnt(0)
	v_pk_mov_b32 v[6:7], v[10:11], v[10:11] op_sel:[0,1]
.LBB85_11:                              ;   in Loop: Header=BB85_3 Depth=1
	s_or_b64 exec, exec, s[10:11]
	s_waitcnt lgkmcnt(3)
	ds_bpermute_b32 v8, v27, v20
	s_waitcnt lgkmcnt(3)
	ds_bpermute_b32 v9, v27, v19
	s_waitcnt lgkmcnt(3)
	ds_bpermute_b32 v10, v27, v32
	s_waitcnt lgkmcnt(3)
	ds_bpermute_b32 v11, v27, v33
	s_and_saveexec_b64 s[10:11], s[2:3]
	s_cbranch_execz .LBB85_13
; %bb.12:                               ;   in Loop: Header=BB85_3 Depth=1
	s_waitcnt lgkmcnt(2)
	v_pk_mov_b32 v[4:5], v[8:9], v[8:9] op_sel:[0,1]
	s_waitcnt lgkmcnt(0)
	v_pk_mov_b32 v[6:7], v[10:11], v[10:11] op_sel:[0,1]
.LBB85_13:                              ;   in Loop: Header=BB85_3 Depth=1
	s_or_b64 exec, exec, s[10:11]
	s_waitcnt lgkmcnt(3)
	ds_bpermute_b32 v8, v27, v18
	s_waitcnt lgkmcnt(3)
	ds_bpermute_b32 v9, v27, v17
	s_waitcnt lgkmcnt(3)
	ds_bpermute_b32 v10, v27, v30
	s_waitcnt lgkmcnt(3)
	ds_bpermute_b32 v11, v27, v31
	;; [unrolled: 17-line block ×3, first 2 shown]
	s_and_saveexec_b64 s[10:11], vcc
	s_or_b64 exec, exec, s[10:11]
	ds_bpermute_b32 v12, v28, v22
	ds_bpermute_b32 v13, v28, v21
	;; [unrolled: 1-line block ×4, first 2 shown]
	s_and_saveexec_b64 s[10:11], s[0:1]
	s_cbranch_execz .LBB85_17
; %bb.16:                               ;   in Loop: Header=BB85_3 Depth=1
	s_waitcnt lgkmcnt(2)
	v_pk_mov_b32 v[8:9], v[12:13], v[12:13] op_sel:[0,1]
	s_waitcnt lgkmcnt(0)
	v_pk_mov_b32 v[10:11], v[14:15], v[14:15] op_sel:[0,1]
.LBB85_17:                              ;   in Loop: Header=BB85_3 Depth=1
	s_or_b64 exec, exec, s[10:11]
	s_waitcnt lgkmcnt(3)
	ds_bpermute_b32 v12, v28, v20
	s_waitcnt lgkmcnt(3)
	ds_bpermute_b32 v13, v28, v19
	s_waitcnt lgkmcnt(3)
	ds_bpermute_b32 v14, v28, v32
	s_waitcnt lgkmcnt(3)
	ds_bpermute_b32 v15, v28, v33
	s_and_saveexec_b64 s[10:11], s[2:3]
	s_cbranch_execz .LBB85_19
; %bb.18:                               ;   in Loop: Header=BB85_3 Depth=1
	s_waitcnt lgkmcnt(2)
	v_pk_mov_b32 v[8:9], v[12:13], v[12:13] op_sel:[0,1]
	s_waitcnt lgkmcnt(0)
	v_pk_mov_b32 v[10:11], v[14:15], v[14:15] op_sel:[0,1]
.LBB85_19:                              ;   in Loop: Header=BB85_3 Depth=1
	s_or_b64 exec, exec, s[10:11]
	s_waitcnt lgkmcnt(3)
	ds_bpermute_b32 v12, v28, v18
	s_waitcnt lgkmcnt(3)
	ds_bpermute_b32 v13, v28, v17
	s_waitcnt lgkmcnt(3)
	ds_bpermute_b32 v14, v28, v30
	s_waitcnt lgkmcnt(3)
	ds_bpermute_b32 v15, v28, v31
	;; [unrolled: 17-line block ×3, first 2 shown]
	s_and_saveexec_b64 s[10:11], vcc
	s_or_b64 exec, exec, s[10:11]
	ds_bpermute_b32 v22, v29, v22
	ds_bpermute_b32 v23, v29, v21
	;; [unrolled: 1-line block ×4, first 2 shown]
	s_and_saveexec_b64 s[10:11], s[0:1]
	s_cbranch_execz .LBB85_23
; %bb.22:                               ;   in Loop: Header=BB85_3 Depth=1
	s_waitcnt lgkmcnt(2)
	v_pk_mov_b32 v[12:13], v[22:23], v[22:23] op_sel:[0,1]
	s_waitcnt lgkmcnt(0)
	v_pk_mov_b32 v[14:15], v[24:25], v[24:25] op_sel:[0,1]
.LBB85_23:                              ;   in Loop: Header=BB85_3 Depth=1
	s_or_b64 exec, exec, s[10:11]
	ds_bpermute_b32 v20, v29, v20
	ds_bpermute_b32 v21, v29, v19
	s_waitcnt lgkmcnt(5)
	ds_bpermute_b32 v22, v29, v32
	s_waitcnt lgkmcnt(5)
	ds_bpermute_b32 v23, v29, v33
	s_and_saveexec_b64 s[10:11], s[2:3]
	s_cbranch_execz .LBB85_25
; %bb.24:                               ;   in Loop: Header=BB85_3 Depth=1
	s_waitcnt lgkmcnt(2)
	v_pk_mov_b32 v[12:13], v[20:21], v[20:21] op_sel:[0,1]
	s_waitcnt lgkmcnt(0)
	v_pk_mov_b32 v[14:15], v[22:23], v[22:23] op_sel:[0,1]
.LBB85_25:                              ;   in Loop: Header=BB85_3 Depth=1
	s_or_b64 exec, exec, s[10:11]
	ds_bpermute_b32 v18, v29, v18
	ds_bpermute_b32 v19, v29, v17
	s_waitcnt lgkmcnt(5)
	ds_bpermute_b32 v20, v29, v30
	s_waitcnt lgkmcnt(5)
	ds_bpermute_b32 v21, v29, v31
	s_and_saveexec_b64 s[10:11], s[8:9]
	s_cbranch_execz .LBB85_2
; %bb.26:                               ;   in Loop: Header=BB85_3 Depth=1
	s_waitcnt lgkmcnt(2)
	v_pk_mov_b32 v[12:13], v[18:19], v[18:19] op_sel:[0,1]
	s_waitcnt lgkmcnt(0)
	v_pk_mov_b32 v[14:15], v[20:21], v[20:21] op_sel:[0,1]
	s_branch .LBB85_2
.LBB85_27:
	v_pk_mov_b32 v[2:3], 0, 0
	v_mov_b32_e32 v23, v17
	v_mov_b32_e32 v21, v17
	;; [unrolled: 1-line block ×3, first 2 shown]
	v_pk_mov_b32 v[14:15], 0, 0
	v_pk_mov_b32 v[0:1], v[16:17], v[16:17] op_sel:[0,1]
	v_pk_mov_b32 v[4:5], v[22:23], v[22:23] op_sel:[0,1]
	;; [unrolled: 1-line block ×6, first 2 shown]
.LBB85_28:
	s_load_dwordx2 s[0:1], s[4:5], 0x0
	v_lshl_or_b32 v16, s6, 10, v16
	v_mov_b32_e32 v17, 0
	v_lshlrev_b64 v[16:17], 4, v[16:17]
	s_waitcnt lgkmcnt(0)
	v_mov_b32_e32 v18, s1
	v_add_co_u32_e32 v16, vcc, s0, v16
	v_addc_co_u32_e32 v17, vcc, v18, v17, vcc
	global_store_dwordx4 v[16:17], v[0:3], off
	global_store_dwordx4 v[16:17], v[4:7], off offset:16
	global_store_dwordx4 v[16:17], v[8:11], off offset:32
	;; [unrolled: 1-line block ×3, first 2 shown]
	s_endpgm
	.section	.rodata,"a",@progbits
	.p2align	6, 0x0
	.amdhsa_kernel _Z20warp_exchange_kernelILj256ELj4ELj32EN6common25StripedToBlockedShuffleOpEoEvPT3_j
		.amdhsa_group_segment_fixed_size 0
		.amdhsa_private_segment_fixed_size 0
		.amdhsa_kernarg_size 12
		.amdhsa_user_sgpr_count 6
		.amdhsa_user_sgpr_private_segment_buffer 1
		.amdhsa_user_sgpr_dispatch_ptr 0
		.amdhsa_user_sgpr_queue_ptr 0
		.amdhsa_user_sgpr_kernarg_segment_ptr 1
		.amdhsa_user_sgpr_dispatch_id 0
		.amdhsa_user_sgpr_flat_scratch_init 0
		.amdhsa_user_sgpr_kernarg_preload_length 0
		.amdhsa_user_sgpr_kernarg_preload_offset 0
		.amdhsa_user_sgpr_private_segment_size 0
		.amdhsa_uses_dynamic_stack 0
		.amdhsa_system_sgpr_private_segment_wavefront_offset 0
		.amdhsa_system_sgpr_workgroup_id_x 1
		.amdhsa_system_sgpr_workgroup_id_y 0
		.amdhsa_system_sgpr_workgroup_id_z 0
		.amdhsa_system_sgpr_workgroup_info 0
		.amdhsa_system_vgpr_workitem_id 0
		.amdhsa_next_free_vgpr 37
		.amdhsa_next_free_sgpr 12
		.amdhsa_accum_offset 40
		.amdhsa_reserve_vcc 1
		.amdhsa_reserve_flat_scratch 0
		.amdhsa_float_round_mode_32 0
		.amdhsa_float_round_mode_16_64 0
		.amdhsa_float_denorm_mode_32 3
		.amdhsa_float_denorm_mode_16_64 3
		.amdhsa_dx10_clamp 1
		.amdhsa_ieee_mode 1
		.amdhsa_fp16_overflow 0
		.amdhsa_tg_split 0
		.amdhsa_exception_fp_ieee_invalid_op 0
		.amdhsa_exception_fp_denorm_src 0
		.amdhsa_exception_fp_ieee_div_zero 0
		.amdhsa_exception_fp_ieee_overflow 0
		.amdhsa_exception_fp_ieee_underflow 0
		.amdhsa_exception_fp_ieee_inexact 0
		.amdhsa_exception_int_div_zero 0
	.end_amdhsa_kernel
	.section	.text._Z20warp_exchange_kernelILj256ELj4ELj32EN6common25StripedToBlockedShuffleOpEoEvPT3_j,"axG",@progbits,_Z20warp_exchange_kernelILj256ELj4ELj32EN6common25StripedToBlockedShuffleOpEoEvPT3_j,comdat
.Lfunc_end85:
	.size	_Z20warp_exchange_kernelILj256ELj4ELj32EN6common25StripedToBlockedShuffleOpEoEvPT3_j, .Lfunc_end85-_Z20warp_exchange_kernelILj256ELj4ELj32EN6common25StripedToBlockedShuffleOpEoEvPT3_j
                                        ; -- End function
	.section	.AMDGPU.csdata,"",@progbits
; Kernel info:
; codeLenInByte = 1568
; NumSgprs: 16
; NumVgprs: 37
; NumAgprs: 0
; TotalNumVgprs: 37
; ScratchSize: 0
; MemoryBound: 0
; FloatMode: 240
; IeeeMode: 1
; LDSByteSize: 0 bytes/workgroup (compile time only)
; SGPRBlocks: 1
; VGPRBlocks: 4
; NumSGPRsForWavesPerEU: 16
; NumVGPRsForWavesPerEU: 37
; AccumOffset: 40
; Occupancy: 8
; WaveLimiterHint : 0
; COMPUTE_PGM_RSRC2:SCRATCH_EN: 0
; COMPUTE_PGM_RSRC2:USER_SGPR: 6
; COMPUTE_PGM_RSRC2:TRAP_HANDLER: 0
; COMPUTE_PGM_RSRC2:TGID_X_EN: 1
; COMPUTE_PGM_RSRC2:TGID_Y_EN: 0
; COMPUTE_PGM_RSRC2:TGID_Z_EN: 0
; COMPUTE_PGM_RSRC2:TIDIG_COMP_CNT: 0
; COMPUTE_PGM_RSRC3_GFX90A:ACCUM_OFFSET: 9
; COMPUTE_PGM_RSRC3_GFX90A:TG_SPLIT: 0
	.section	.text._Z20warp_exchange_kernelILj256ELj16ELj16EN6common25StripedToBlockedShuffleOpEoEvPT3_j,"axG",@progbits,_Z20warp_exchange_kernelILj256ELj16ELj16EN6common25StripedToBlockedShuffleOpEoEvPT3_j,comdat
	.protected	_Z20warp_exchange_kernelILj256ELj16ELj16EN6common25StripedToBlockedShuffleOpEoEvPT3_j ; -- Begin function _Z20warp_exchange_kernelILj256ELj16ELj16EN6common25StripedToBlockedShuffleOpEoEvPT3_j
	.globl	_Z20warp_exchange_kernelILj256ELj16ELj16EN6common25StripedToBlockedShuffleOpEoEvPT3_j
	.p2align	8
	.type	_Z20warp_exchange_kernelILj256ELj16ELj16EN6common25StripedToBlockedShuffleOpEoEvPT3_j,@function
_Z20warp_exchange_kernelILj256ELj16ELj16EN6common25StripedToBlockedShuffleOpEoEvPT3_j: ; @_Z20warp_exchange_kernelILj256ELj16ELj16EN6common25StripedToBlockedShuffleOpEoEvPT3_j
; %bb.0:
	s_add_u32 s0, s0, s9
	s_load_dword s9, s[4:5], 0x8
	s_addc_u32 s1, s1, 0
	v_lshlrev_b32_e32 v64, 4, v0
	v_or_b32_e32 v56, 1, v64
	v_or_b32_e32 v52, 2, v64
	;; [unrolled: 1-line block ×14, first 2 shown]
	s_waitcnt lgkmcnt(0)
	s_cmp_eq_u32 s9, 0
	v_or_b32_e32 v20, 15, v64
	s_cbranch_scc1 .LBB86_3
; %bb.1:
	v_mbcnt_lo_u32_b32 v1, -1, 0
	v_mbcnt_hi_u32_b32 v1, -1, v1
	v_and_b32_e32 v2, 8, v1
	v_mov_b32_e32 v5, 0x90
	v_cmp_eq_u32_e32 vcc, 0, v2
	v_mov_b32_e32 v6, 0xa0
	v_mov_b32_e32 v10, 0xb0
	;; [unrolled: 1-line block ×9, first 2 shown]
	v_and_b32_e32 v39, 4, v1
	v_lshlrev_b32_e32 v3, 4, v2
	v_cndmask_b32_e32 v2, 16, v5, vcc
	v_cndmask_b32_e32 v7, 32, v6, vcc
	;; [unrolled: 1-line block ×7, first 2 shown]
	v_cmp_eq_u32_e32 vcc, 0, v39
	v_mov_b32_e32 v45, 0x80
	v_and_b32_e32 v51, 2, v1
	v_and_b32_e32 v1, 1, v1
	v_mov_b32_e32 v21, 0
	v_lshlrev_b32_e32 v41, 4, v39
	v_cndmask_b32_e32 v39, 16, v18, vcc
	v_cndmask_b32_e32 v42, 32, v27, vcc
	;; [unrolled: 1-line block ×7, first 2 shown]
	v_lshlrev_b32_e32 v53, 4, v51
	v_cmp_eq_u32_e32 vcc, 0, v51
	v_cmp_eq_u32_e64 s[6:7], 0, v1
	v_lshlrev_b32_e32 v1, 4, v1
	v_mov_b32_e32 v65, v21
	v_xor_b32_e32 v3, 0x80, v3
	v_xor_b32_e32 v41, 64, v41
	;; [unrolled: 1-line block ×3, first 2 shown]
	v_cndmask_b32_e64 v51, 16, 48, vcc
	v_cndmask_b32_e32 v54, 64, v27, vcc
	v_cndmask_b32_e32 v55, v18, v34, vcc
	;; [unrolled: 1-line block ×3, first 2 shown]
	v_cndmask_b32_e64 v58, 32, 48, s[6:7]
	v_cndmask_b32_e64 v27, v27, v34, s[6:7]
	v_cndmask_b32_e32 v34, v5, v10, vcc
	v_cndmask_b32_e64 v5, v45, v5, s[6:7]
	v_cndmask_b32_e32 v45, v14, v30, vcc
	;; [unrolled: 2-line block ×3, first 2 shown]
	v_xor_b32_e32 v1, 16, v1
	v_cndmask_b32_e64 v18, 64, v18, s[6:7]
	v_cndmask_b32_e64 v14, v14, v19, s[6:7]
	;; [unrolled: 1-line block ×3, first 2 shown]
	v_pk_mov_b32 v[22:23], 0, 0
	v_mov_b32_e32 v33, v21
	v_mov_b32_e32 v25, v21
	;; [unrolled: 1-line block ×7, first 2 shown]
	v_add_u32_e32 v66, 0, v3
	v_add_u32_e32 v67, 0, v2
	;; [unrolled: 1-line block ×32, first 2 shown]
	v_pk_mov_b32 v[34:35], 0, 0
	v_pk_mov_b32 v[26:27], 0, 0
	;; [unrolled: 1-line block ×7, first 2 shown]
	v_mov_b32_e32 v1, v21
	v_pk_mov_b32 v[2:3], 0, 0
	v_mov_b32_e32 v5, v21
	v_pk_mov_b32 v[6:7], 0, 0
	;; [unrolled: 2-line block ×7, first 2 shown]
	v_pk_mov_b32 v[62:63], 0, 0
	v_pk_mov_b32 v[60:61], v[64:65], v[64:65] op_sel:[0,1]
.LBB86_2:                               ; =>This Inner Loop Header: Depth=1
	s_waitcnt vmcnt(62)
	buffer_store_dword v61, off, s[0:3], 0 offset:4
	buffer_store_dword v60, off, s[0:3], 0
	buffer_store_dword v63, off, s[0:3], 0 offset:12
	buffer_store_dword v62, off, s[0:3], 0 offset:8
	;; [unrolled: 1-line block ×6, first 2 shown]
	s_waitcnt vmcnt(62)
	buffer_store_dword v53, off, s[0:3], 0 offset:36
	buffer_store_dword v52, off, s[0:3], 0 offset:32
	;; [unrolled: 1-line block ×8, first 2 shown]
	s_waitcnt vmcnt(62)
	buffer_store_dword v45, off, s[0:3], 0 offset:68
	buffer_store_dword v44, off, s[0:3], 0 offset:64
	;; [unrolled: 1-line block ×16, first 2 shown]
	s_waitcnt vmcnt(62)
	buffer_store_dword v29, off, s[0:3], 0 offset:132
	buffer_store_dword v28, off, s[0:3], 0 offset:128
	;; [unrolled: 1-line block ×10, first 2 shown]
	s_waitcnt vmcnt(62)
	buffer_store_dword v19, off, s[0:3], 0 offset:172
	buffer_store_dword v18, off, s[0:3], 0 offset:168
	buffer_store_dword v9, off, s[0:3], 0 offset:180
	buffer_store_dword v8, off, s[0:3], 0 offset:176
	buffer_store_dword v11, off, s[0:3], 0 offset:188
	buffer_store_dword v10, off, s[0:3], 0 offset:184
	s_waitcnt vmcnt(62)
	buffer_store_dword v37, off, s[0:3], 0 offset:196
	buffer_store_dword v36, off, s[0:3], 0 offset:192
	s_waitcnt vmcnt(62)
	buffer_store_dword v39, off, s[0:3], 0 offset:204
	buffer_store_dword v38, off, s[0:3], 0 offset:200
	;; [unrolled: 3-line block ×8, first 2 shown]
	buffer_load_dword v0, v66, s[0:3], 0 offen offset:12
	buffer_load_dword v1, v66, s[0:3], 0 offen offset:8
	;; [unrolled: 1-line block ×3, first 2 shown]
	buffer_load_dword v3, v66, s[0:3], 0 offen
	s_add_i32 s9, s9, -1
	s_cmp_lg_u32 s9, 0
	s_waitcnt vmcnt(3)
	ds_swizzle_b32 v0, v0 offset:swizzle(SWAP,8)
	s_waitcnt vmcnt(2)
	ds_swizzle_b32 v1, v1 offset:swizzle(SWAP,8)
	s_waitcnt vmcnt(1)
	ds_swizzle_b32 v2, v2 offset:swizzle(SWAP,8)
	s_waitcnt vmcnt(0)
	ds_swizzle_b32 v3, v3 offset:swizzle(SWAP,8)
	s_waitcnt lgkmcnt(3)
	buffer_store_dword v0, v66, s[0:3], 0 offen offset:12
	s_waitcnt lgkmcnt(2)
	buffer_store_dword v1, v66, s[0:3], 0 offen offset:8
	s_waitcnt lgkmcnt(1)
	buffer_store_dword v2, v66, s[0:3], 0 offen offset:4
	s_waitcnt lgkmcnt(0)
	buffer_store_dword v3, v66, s[0:3], 0 offen
	buffer_load_dword v0, v67, s[0:3], 0 offen offset:12
	buffer_load_dword v1, v67, s[0:3], 0 offen offset:8
	buffer_load_dword v2, v67, s[0:3], 0 offen offset:4
	s_nop 0
	buffer_load_dword v3, v67, s[0:3], 0 offen
	s_waitcnt vmcnt(3)
	ds_swizzle_b32 v0, v0 offset:swizzle(SWAP,8)
	s_waitcnt vmcnt(2)
	ds_swizzle_b32 v1, v1 offset:swizzle(SWAP,8)
	s_waitcnt vmcnt(1)
	ds_swizzle_b32 v2, v2 offset:swizzle(SWAP,8)
	s_waitcnt vmcnt(0)
	ds_swizzle_b32 v3, v3 offset:swizzle(SWAP,8)
	s_waitcnt lgkmcnt(3)
	buffer_store_dword v0, v67, s[0:3], 0 offen offset:12
	s_waitcnt lgkmcnt(2)
	buffer_store_dword v1, v67, s[0:3], 0 offen offset:8
	s_waitcnt lgkmcnt(1)
	buffer_store_dword v2, v67, s[0:3], 0 offen offset:4
	s_waitcnt lgkmcnt(0)
	buffer_store_dword v3, v67, s[0:3], 0 offen
	buffer_load_dword v0, v68, s[0:3], 0 offen offset:12
	buffer_load_dword v1, v68, s[0:3], 0 offen offset:8
	buffer_load_dword v2, v68, s[0:3], 0 offen offset:4
	s_nop 0
	buffer_load_dword v3, v68, s[0:3], 0 offen
	;; [unrolled: 21-line block ×4, first 2 shown]
	s_waitcnt vmcnt(3)
	ds_swizzle_b32 v0, v0 offset:swizzle(SWAP,8)
	s_waitcnt vmcnt(2)
	ds_swizzle_b32 v1, v1 offset:swizzle(SWAP,8)
	;; [unrolled: 2-line block ×4, first 2 shown]
	s_waitcnt lgkmcnt(3)
	buffer_store_dword v0, v70, s[0:3], 0 offen offset:12
	s_waitcnt lgkmcnt(2)
	buffer_store_dword v1, v70, s[0:3], 0 offen offset:8
	;; [unrolled: 2-line block ×3, first 2 shown]
	s_waitcnt lgkmcnt(0)
	buffer_store_dword v3, v70, s[0:3], 0 offen
	buffer_load_dword v0, v71, s[0:3], 0 offen
	buffer_load_dword v1, v71, s[0:3], 0 offen offset:12
	buffer_load_dword v2, v71, s[0:3], 0 offen offset:8
	s_nop 0
	buffer_load_dword v3, v71, s[0:3], 0 offen offset:4
	buffer_load_dword v4, v74, s[0:3], 0 offen
	buffer_load_dword v5, v74, s[0:3], 0 offen offset:12
	s_waitcnt vmcnt(5)
	ds_swizzle_b32 v0, v0 offset:swizzle(SWAP,8)
	s_waitcnt vmcnt(4)
	ds_swizzle_b32 v1, v1 offset:swizzle(SWAP,8)
	;; [unrolled: 2-line block ×6, first 2 shown]
	s_waitcnt lgkmcnt(4)
	buffer_store_dword v1, v71, s[0:3], 0 offen offset:12
	s_waitcnt lgkmcnt(3)
	buffer_store_dword v2, v71, s[0:3], 0 offen offset:8
	;; [unrolled: 2-line block ×3, first 2 shown]
	buffer_store_dword v0, v71, s[0:3], 0 offen
	s_waitcnt lgkmcnt(0)
	buffer_store_dword v5, v74, s[0:3], 0 offen offset:12
	buffer_store_dword v4, v74, s[0:3], 0 offen
	buffer_load_dword v0, v72, s[0:3], 0 offen offset:12
	buffer_load_dword v1, v72, s[0:3], 0 offen offset:8
	;; [unrolled: 1-line block ×3, first 2 shown]
	buffer_load_dword v3, v72, s[0:3], 0 offen
	s_nop 0
	buffer_load_dword v4, v74, s[0:3], 0 offen offset:4
	s_waitcnt vmcnt(4)
	ds_swizzle_b32 v0, v0 offset:swizzle(SWAP,8)
	s_waitcnt vmcnt(3)
	ds_swizzle_b32 v1, v1 offset:swizzle(SWAP,8)
	s_waitcnt vmcnt(2)
	ds_swizzle_b32 v2, v2 offset:swizzle(SWAP,8)
	s_waitcnt vmcnt(1)
	ds_swizzle_b32 v3, v3 offset:swizzle(SWAP,8)
	s_waitcnt vmcnt(0)
	ds_swizzle_b32 v4, v4 offset:swizzle(SWAP,4)
	s_waitcnt lgkmcnt(4)
	buffer_store_dword v0, v72, s[0:3], 0 offen offset:12
	s_waitcnt lgkmcnt(3)
	buffer_store_dword v1, v72, s[0:3], 0 offen offset:8
	;; [unrolled: 2-line block ×3, first 2 shown]
	s_waitcnt lgkmcnt(1)
	buffer_store_dword v3, v72, s[0:3], 0 offen
	s_waitcnt lgkmcnt(0)
	buffer_store_dword v4, v74, s[0:3], 0 offen offset:4
	buffer_load_dword v0, v73, s[0:3], 0 offen offset:12
	buffer_load_dword v1, v73, s[0:3], 0 offen offset:8
	;; [unrolled: 1-line block ×3, first 2 shown]
	buffer_load_dword v3, v73, s[0:3], 0 offen
	s_nop 0
	buffer_load_dword v4, v74, s[0:3], 0 offen offset:8
	s_waitcnt vmcnt(4)
	ds_swizzle_b32 v0, v0 offset:swizzle(SWAP,8)
	s_waitcnt vmcnt(3)
	ds_swizzle_b32 v1, v1 offset:swizzle(SWAP,8)
	;; [unrolled: 2-line block ×5, first 2 shown]
	s_waitcnt lgkmcnt(4)
	buffer_store_dword v0, v73, s[0:3], 0 offen offset:12
	s_waitcnt lgkmcnt(3)
	buffer_store_dword v1, v73, s[0:3], 0 offen offset:8
	;; [unrolled: 2-line block ×3, first 2 shown]
	s_waitcnt lgkmcnt(1)
	buffer_store_dword v3, v73, s[0:3], 0 offen
	s_waitcnt lgkmcnt(0)
	buffer_store_dword v4, v74, s[0:3], 0 offen offset:8
	buffer_load_dword v0, v75, s[0:3], 0 offen
	buffer_load_dword v1, v75, s[0:3], 0 offen offset:12
	buffer_load_dword v2, v75, s[0:3], 0 offen offset:8
	;; [unrolled: 1-line block ×3, first 2 shown]
	s_nop 0
	buffer_load_dword v4, v78, s[0:3], 0 offen
	buffer_load_dword v5, v78, s[0:3], 0 offen offset:12
	s_waitcnt vmcnt(5)
	ds_swizzle_b32 v0, v0 offset:swizzle(SWAP,4)
	s_waitcnt vmcnt(4)
	ds_swizzle_b32 v1, v1 offset:swizzle(SWAP,4)
	;; [unrolled: 2-line block ×6, first 2 shown]
	s_waitcnt lgkmcnt(4)
	buffer_store_dword v1, v75, s[0:3], 0 offen offset:12
	s_waitcnt lgkmcnt(3)
	buffer_store_dword v2, v75, s[0:3], 0 offen offset:8
	;; [unrolled: 2-line block ×3, first 2 shown]
	buffer_store_dword v0, v75, s[0:3], 0 offen
	s_waitcnt lgkmcnt(0)
	buffer_store_dword v5, v78, s[0:3], 0 offen offset:12
	buffer_store_dword v4, v78, s[0:3], 0 offen
	buffer_load_dword v0, v76, s[0:3], 0 offen offset:12
	buffer_load_dword v1, v76, s[0:3], 0 offen offset:8
	;; [unrolled: 1-line block ×3, first 2 shown]
	buffer_load_dword v3, v76, s[0:3], 0 offen
	s_nop 0
	buffer_load_dword v4, v78, s[0:3], 0 offen offset:4
	s_waitcnt vmcnt(4)
	ds_swizzle_b32 v0, v0 offset:swizzle(SWAP,4)
	s_waitcnt vmcnt(3)
	ds_swizzle_b32 v1, v1 offset:swizzle(SWAP,4)
	;; [unrolled: 2-line block ×5, first 2 shown]
	s_waitcnt lgkmcnt(4)
	buffer_store_dword v0, v76, s[0:3], 0 offen offset:12
	s_waitcnt lgkmcnt(3)
	buffer_store_dword v1, v76, s[0:3], 0 offen offset:8
	;; [unrolled: 2-line block ×3, first 2 shown]
	s_waitcnt lgkmcnt(1)
	buffer_store_dword v3, v76, s[0:3], 0 offen
	s_waitcnt lgkmcnt(0)
	buffer_store_dword v4, v78, s[0:3], 0 offen offset:4
	buffer_load_dword v0, v77, s[0:3], 0 offen
	buffer_load_dword v1, v77, s[0:3], 0 offen offset:12
	buffer_load_dword v2, v77, s[0:3], 0 offen offset:8
	;; [unrolled: 1-line block ×3, first 2 shown]
	s_nop 0
	buffer_load_dword v4, v78, s[0:3], 0 offen offset:8
	buffer_load_dword v5, v82, s[0:3], 0 offen
	s_waitcnt vmcnt(5)
	ds_swizzle_b32 v0, v0 offset:swizzle(SWAP,4)
	s_waitcnt vmcnt(4)
	ds_swizzle_b32 v1, v1 offset:swizzle(SWAP,4)
	;; [unrolled: 2-line block ×6, first 2 shown]
	s_waitcnt lgkmcnt(4)
	buffer_store_dword v1, v77, s[0:3], 0 offen offset:12
	s_waitcnt lgkmcnt(3)
	buffer_store_dword v2, v77, s[0:3], 0 offen offset:8
	;; [unrolled: 2-line block ×3, first 2 shown]
	buffer_store_dword v0, v77, s[0:3], 0 offen
	s_waitcnt lgkmcnt(1)
	buffer_store_dword v4, v78, s[0:3], 0 offen offset:8
	s_waitcnt lgkmcnt(0)
	buffer_store_dword v5, v82, s[0:3], 0 offen
	buffer_load_dword v0, v79, s[0:3], 0 offen
	buffer_load_dword v1, v79, s[0:3], 0 offen offset:12
	buffer_load_dword v2, v79, s[0:3], 0 offen offset:8
	;; [unrolled: 1-line block ×4, first 2 shown]
	buffer_load_dword v5, v84, s[0:3], 0 offen
	s_waitcnt vmcnt(5)
	ds_swizzle_b32 v0, v0 offset:swizzle(SWAP,4)
	s_waitcnt vmcnt(4)
	ds_swizzle_b32 v1, v1 offset:swizzle(SWAP,4)
	s_waitcnt vmcnt(3)
	ds_swizzle_b32 v2, v2 offset:swizzle(SWAP,4)
	s_waitcnt vmcnt(2)
	ds_swizzle_b32 v3, v3 offset:swizzle(SWAP,4)
	s_waitcnt vmcnt(1)
	ds_swizzle_b32 v4, v4 offset:swizzle(SWAP,2)
	s_waitcnt vmcnt(0)
	ds_swizzle_b32 v5, v5 offset:swizzle(SWAP,2)
	s_waitcnt lgkmcnt(4)
	buffer_store_dword v1, v79, s[0:3], 0 offen offset:12
	s_waitcnt lgkmcnt(3)
	buffer_store_dword v2, v79, s[0:3], 0 offen offset:8
	;; [unrolled: 2-line block ×3, first 2 shown]
	buffer_store_dword v0, v79, s[0:3], 0 offen
	s_waitcnt lgkmcnt(1)
	buffer_store_dword v4, v82, s[0:3], 0 offen offset:4
	s_waitcnt lgkmcnt(0)
	buffer_store_dword v5, v84, s[0:3], 0 offen
	buffer_load_dword v0, v80, s[0:3], 0 offen
	buffer_load_dword v1, v80, s[0:3], 0 offen offset:12
	buffer_load_dword v2, v80, s[0:3], 0 offen offset:8
	;; [unrolled: 1-line block ×5, first 2 shown]
	s_waitcnt vmcnt(5)
	ds_swizzle_b32 v0, v0 offset:swizzle(SWAP,4)
	s_waitcnt vmcnt(4)
	ds_swizzle_b32 v1, v1 offset:swizzle(SWAP,4)
	;; [unrolled: 2-line block ×6, first 2 shown]
	s_waitcnt lgkmcnt(4)
	buffer_store_dword v1, v80, s[0:3], 0 offen offset:12
	s_waitcnt lgkmcnt(3)
	buffer_store_dword v2, v80, s[0:3], 0 offen offset:8
	;; [unrolled: 2-line block ×3, first 2 shown]
	buffer_store_dword v0, v80, s[0:3], 0 offen
	s_waitcnt lgkmcnt(1)
	buffer_store_dword v4, v82, s[0:3], 0 offen offset:8
	s_waitcnt lgkmcnt(0)
	buffer_store_dword v5, v84, s[0:3], 0 offen offset:4
	buffer_load_dword v0, v81, s[0:3], 0 offen
	buffer_load_dword v1, v81, s[0:3], 0 offen offset:4
	buffer_load_dword v2, v81, s[0:3], 0 offen offset:8
	buffer_load_dword v3, v81, s[0:3], 0 offen offset:12
	buffer_load_dword v4, v82, s[0:3], 0 offen offset:12
	buffer_load_dword v5, v84, s[0:3], 0 offen offset:8
	buffer_load_dword v6, v86, s[0:3], 0 offen
	buffer_load_dword v7, v86, s[0:3], 0 offen offset:12
	s_waitcnt vmcnt(7)
	ds_swizzle_b32 v0, v0 offset:swizzle(SWAP,4)
	s_waitcnt vmcnt(6)
	ds_swizzle_b32 v1, v1 offset:swizzle(SWAP,4)
	s_waitcnt vmcnt(5)
	ds_swizzle_b32 v2, v2 offset:swizzle(SWAP,4)
	s_waitcnt vmcnt(4)
	ds_swizzle_b32 v3, v3 offset:swizzle(SWAP,4)
	s_waitcnt vmcnt(3)
	ds_swizzle_b32 v4, v4 offset:swizzle(SWAP,2)
	s_waitcnt vmcnt(2)
	ds_swizzle_b32 v5, v5 offset:swizzle(SWAP,2)
	s_waitcnt vmcnt(1)
	ds_swizzle_b32 v6, v6 offset:swizzle(SWAP,2)
	s_waitcnt vmcnt(0)
	ds_swizzle_b32 v7, v7 offset:swizzle(SWAP,2)
	s_waitcnt lgkmcnt(4)
	buffer_store_dword v3, v81, s[0:3], 0 offen offset:12
	buffer_store_dword v2, v81, s[0:3], 0 offen offset:8
	buffer_store_dword v1, v81, s[0:3], 0 offen offset:4
	buffer_store_dword v0, v81, s[0:3], 0 offen
	s_waitcnt lgkmcnt(3)
	buffer_store_dword v4, v82, s[0:3], 0 offen offset:12
	s_waitcnt lgkmcnt(2)
	buffer_store_dword v5, v84, s[0:3], 0 offen offset:8
	s_waitcnt lgkmcnt(0)
	buffer_store_dword v7, v86, s[0:3], 0 offen offset:12
	buffer_store_dword v6, v86, s[0:3], 0 offen
	buffer_load_dword v0, v83, s[0:3], 0 offen
	buffer_load_dword v1, v83, s[0:3], 0 offen offset:4
	buffer_load_dword v2, v83, s[0:3], 0 offen offset:8
	buffer_load_dword v3, v83, s[0:3], 0 offen offset:12
	buffer_load_dword v4, v84, s[0:3], 0 offen offset:12
	buffer_load_dword v5, v86, s[0:3], 0 offen offset:4
	buffer_load_dword v6, v88, s[0:3], 0 offen
	buffer_load_dword v7, v88, s[0:3], 0 offen offset:12
	s_waitcnt vmcnt(7)
	ds_swizzle_b32 v0, v0 offset:swizzle(SWAP,2)
	s_waitcnt vmcnt(6)
	ds_swizzle_b32 v1, v1 offset:swizzle(SWAP,2)
	s_waitcnt vmcnt(5)
	ds_swizzle_b32 v2, v2 offset:swizzle(SWAP,2)
	s_waitcnt vmcnt(4)
	ds_swizzle_b32 v3, v3 offset:swizzle(SWAP,2)
	s_waitcnt vmcnt(3)
	ds_swizzle_b32 v4, v4 offset:swizzle(SWAP,2)
	s_waitcnt vmcnt(2)
	ds_swizzle_b32 v5, v5 offset:swizzle(SWAP,2)
	s_waitcnt vmcnt(1)
	ds_swizzle_b32 v6, v6 offset:swizzle(SWAP,2)
	s_waitcnt vmcnt(0)
	ds_swizzle_b32 v7, v7 offset:swizzle(SWAP,2)
	s_waitcnt lgkmcnt(4)
	buffer_store_dword v3, v83, s[0:3], 0 offen offset:12
	buffer_store_dword v2, v83, s[0:3], 0 offen offset:8
	buffer_store_dword v1, v83, s[0:3], 0 offen offset:4
	buffer_store_dword v0, v83, s[0:3], 0 offen
	s_waitcnt lgkmcnt(3)
	buffer_store_dword v4, v84, s[0:3], 0 offen offset:12
	s_waitcnt lgkmcnt(2)
	buffer_store_dword v5, v86, s[0:3], 0 offen offset:4
	s_waitcnt lgkmcnt(0)
	buffer_store_dword v7, v88, s[0:3], 0 offen offset:12
	buffer_store_dword v6, v88, s[0:3], 0 offen
	;; [unrolled: 36-line block ×3, first 2 shown]
	buffer_load_dword v0, v87, s[0:3], 0 offen
	buffer_load_dword v1, v87, s[0:3], 0 offen offset:4
	buffer_load_dword v2, v87, s[0:3], 0 offen offset:8
	;; [unrolled: 1-line block ×5, first 2 shown]
	buffer_load_dword v6, v91, s[0:3], 0 offen
	buffer_load_dword v7, v91, s[0:3], 0 offen offset:8
	buffer_load_dword v8, v92, s[0:3], 0 offen offset:4
	;; [unrolled: 1-line block ×4, first 2 shown]
	buffer_load_dword v11, v93, s[0:3], 0 offen
	buffer_load_dword v12, v93, s[0:3], 0 offen offset:4
	buffer_load_dword v13, v93, s[0:3], 0 offen offset:8
	;; [unrolled: 1-line block ×3, first 2 shown]
	s_waitcnt vmcnt(14)
	ds_swizzle_b32 v0, v0 offset:swizzle(SWAP,2)
	s_waitcnt vmcnt(13)
	ds_swizzle_b32 v1, v1 offset:swizzle(SWAP,2)
	;; [unrolled: 2-line block ×8, first 2 shown]
	s_waitcnt lgkmcnt(4)
	buffer_store_dword v3, v87, s[0:3], 0 offen offset:12
	buffer_store_dword v2, v87, s[0:3], 0 offen offset:8
	;; [unrolled: 1-line block ×3, first 2 shown]
	buffer_store_dword v0, v87, s[0:3], 0 offen
	s_waitcnt lgkmcnt(3)
	buffer_store_dword v4, v88, s[0:3], 0 offen offset:8
	s_waitcnt lgkmcnt(2)
	buffer_store_dword v5, v90, s[0:3], 0 offen offset:4
	;; [unrolled: 2-line block ×3, first 2 shown]
	buffer_store_dword v6, v91, s[0:3], 0 offen
	buffer_load_dword v15, v89, s[0:3], 0 offen
	buffer_load_dword v16, v89, s[0:3], 0 offen offset:4
	buffer_load_dword v17, v89, s[0:3], 0 offen offset:8
	;; [unrolled: 1-line block ×6, first 2 shown]
	buffer_load_dword v22, v92, s[0:3], 0 offen
	buffer_load_dword v23, v94, s[0:3], 0 offen
	buffer_load_dword v24, v94, s[0:3], 0 offen offset:4
	buffer_load_dword v25, v94, s[0:3], 0 offen offset:8
	;; [unrolled: 1-line block ×3, first 2 shown]
	buffer_load_dword v27, v95, s[0:3], 0 offen
	buffer_load_dword v28, v95, s[0:3], 0 offen offset:4
	buffer_load_dword v29, v95, s[0:3], 0 offen offset:8
	;; [unrolled: 1-line block ×3, first 2 shown]
	s_waitcnt vmcnt(28)
	ds_swizzle_b32 v2, v10 offset:swizzle(SWAP,1)
	ds_swizzle_b32 v1, v9 offset:swizzle(SWAP,1)
	s_waitcnt vmcnt(27)
	ds_swizzle_b32 v3, v11 offset:swizzle(SWAP,1)
	ds_swizzle_b32 v0, v8 offset:swizzle(SWAP,1)
	;; [unrolled: 3-line block ×3, first 2 shown]
	ds_swizzle_b32 v4, v12 offset:swizzle(SWAP,1)
	s_waitcnt lgkmcnt(6)
	buffer_store_dword v2, v92, s[0:3], 0 offen offset:12
	s_waitcnt lgkmcnt(5)
	buffer_store_dword v1, v92, s[0:3], 0 offen offset:8
	;; [unrolled: 2-line block ×6, first 2 shown]
	buffer_store_dword v3, v93, s[0:3], 0 offen
	buffer_load_dword v4, off, s[0:3], 0 offset:96
	s_nop 0
	buffer_load_dword v5, off, s[0:3], 0 offset:100
	buffer_load_dword v6, off, s[0:3], 0 offset:104
	;; [unrolled: 1-line block ×7, first 2 shown]
	s_waitcnt vmcnt(30)
	ds_swizzle_b32 v8, v15 offset:swizzle(SWAP,2)
	s_waitcnt vmcnt(29)
	ds_swizzle_b32 v9, v16 offset:swizzle(SWAP,2)
	;; [unrolled: 2-line block ×9, first 2 shown]
	s_waitcnt lgkmcnt(5)
	buffer_store_dword v11, v89, s[0:3], 0 offen offset:12
	buffer_store_dword v10, v89, s[0:3], 0 offen offset:8
	;; [unrolled: 1-line block ×3, first 2 shown]
	buffer_store_dword v8, v89, s[0:3], 0 offen
	s_waitcnt lgkmcnt(4)
	buffer_store_dword v12, v90, s[0:3], 0 offen offset:8
	s_waitcnt lgkmcnt(2)
	buffer_store_dword v14, v91, s[0:3], 0 offen offset:12
	buffer_store_dword v13, v91, s[0:3], 0 offen offset:4
	s_waitcnt lgkmcnt(1)
	buffer_store_dword v15, v92, s[0:3], 0 offen
	s_waitcnt lgkmcnt(0)
	buffer_store_dword v16, v94, s[0:3], 0 offen
	buffer_load_dword v20, v96, s[0:3], 0 offen
	buffer_load_dword v21, v96, s[0:3], 0 offen offset:4
	buffer_load_dword v22, v96, s[0:3], 0 offen offset:8
	;; [unrolled: 1-line block ×3, first 2 shown]
	buffer_load_dword v32, v97, s[0:3], 0 offen
	buffer_load_dword v33, v97, s[0:3], 0 offen offset:4
	buffer_load_dword v34, v97, s[0:3], 0 offen offset:8
	;; [unrolled: 1-line block ×3, first 2 shown]
	buffer_load_dword v60, off, s[0:3], 0
	buffer_load_dword v61, off, s[0:3], 0 offset:4
	buffer_load_dword v62, off, s[0:3], 0 offset:8
	;; [unrolled: 1-line block ×23, first 2 shown]
	s_waitcnt vmcnt(60)
	ds_swizzle_b32 v10, v26 offset:swizzle(SWAP,1)
	ds_swizzle_b32 v9, v25 offset:swizzle(SWAP,1)
	;; [unrolled: 1-line block ×3, first 2 shown]
	s_waitcnt vmcnt(56)
	ds_swizzle_b32 v14, v30 offset:swizzle(SWAP,1)
	ds_swizzle_b32 v13, v29 offset:swizzle(SWAP,1)
	;; [unrolled: 1-line block ×4, first 2 shown]
	s_waitcnt lgkmcnt(6)
	buffer_store_dword v10, v94, s[0:3], 0 offen offset:12
	s_waitcnt lgkmcnt(5)
	buffer_store_dword v9, v94, s[0:3], 0 offen offset:8
	;; [unrolled: 2-line block ×6, first 2 shown]
	buffer_store_dword v11, v95, s[0:3], 0 offen
	buffer_load_dword v28, off, s[0:3], 0 offset:128
	buffer_load_dword v29, off, s[0:3], 0 offset:132
	;; [unrolled: 1-line block ×16, first 2 shown]
	s_waitcnt vmcnt(54)
	ds_swizzle_b32 v20, v20 offset:swizzle(SWAP,1)
	s_waitcnt vmcnt(53)
	ds_swizzle_b32 v21, v21 offset:swizzle(SWAP,1)
	;; [unrolled: 2-line block ×8, first 2 shown]
	s_waitcnt lgkmcnt(4)
	buffer_store_dword v23, v96, s[0:3], 0 offen offset:12
	buffer_store_dword v22, v96, s[0:3], 0 offen offset:8
	;; [unrolled: 1-line block ×3, first 2 shown]
	buffer_store_dword v20, v96, s[0:3], 0 offen
	s_waitcnt lgkmcnt(0)
	buffer_store_dword v27, v97, s[0:3], 0 offen offset:12
	buffer_store_dword v26, v97, s[0:3], 0 offen offset:8
	;; [unrolled: 1-line block ×3, first 2 shown]
	buffer_store_dword v24, v97, s[0:3], 0 offen
	buffer_load_dword v36, off, s[0:3], 0 offset:192
	buffer_load_dword v37, off, s[0:3], 0 offset:196
	;; [unrolled: 1-line block ×4, first 2 shown]
	s_nop 0
	buffer_load_dword v24, off, s[0:3], 0 offset:208
	buffer_load_dword v25, off, s[0:3], 0 offset:212
	;; [unrolled: 1-line block ×12, first 2 shown]
	; wave barrier
	s_cbranch_scc1 .LBB86_2
	s_branch .LBB86_4
.LBB86_3:
	v_mov_b32_e32 v65, 0
	v_pk_mov_b32 v[22:23], 0, 0
	v_pk_mov_b32 v[62:63], 0, 0
	v_mov_b32_e32 v57, v65
	v_mov_b32_e32 v53, v65
	;; [unrolled: 1-line block ×13, first 2 shown]
	v_pk_mov_b32 v[60:61], v[64:65], v[64:65] op_sel:[0,1]
	v_pk_mov_b32 v[58:59], 0, 0
	v_pk_mov_b32 v[54:55], 0, 0
	;; [unrolled: 1-line block ×12, first 2 shown]
	v_mov_b32_e32 v25, v65
	v_pk_mov_b32 v[26:27], 0, 0
	v_mov_b32_e32 v33, v65
	v_pk_mov_b32 v[34:35], 0, 0
.LBB86_4:
	s_load_dwordx2 s[4:5], s[4:5], 0x0
	v_lshl_or_b32 v64, s8, 12, v64
	v_mov_b32_e32 v65, 0
	v_lshlrev_b64 v[64:65], 4, v[64:65]
	s_waitcnt lgkmcnt(0)
	v_mov_b32_e32 v66, s5
	v_add_co_u32_e32 v64, vcc, s4, v64
	v_addc_co_u32_e32 v65, vcc, v66, v65, vcc
	s_waitcnt vmcnt(62)
	global_store_dwordx4 v[64:65], v[60:63], off
	global_store_dwordx4 v[64:65], v[56:59], off offset:16
	s_waitcnt vmcnt(61)
	global_store_dwordx4 v[64:65], v[52:55], off offset:32
	s_waitcnt vmcnt(58)
	global_store_dwordx4 v[64:65], v[48:51], off offset:48
	s_waitcnt vmcnt(55)
	global_store_dwordx4 v[64:65], v[44:47], off offset:64
	s_waitcnt vmcnt(52)
	global_store_dwordx4 v[64:65], v[40:43], off offset:80
	global_store_dwordx4 v[64:65], v[4:7], off offset:96
	;; [unrolled: 1-line block ×3, first 2 shown]
	s_waitcnt vmcnt(44)
	global_store_dwordx4 v[64:65], v[28:31], off offset:128
	s_waitcnt vmcnt(41)
	global_store_dwordx4 v[64:65], v[12:15], off offset:144
	;; [unrolled: 2-line block ×8, first 2 shown]
	s_endpgm
	.section	.rodata,"a",@progbits
	.p2align	6, 0x0
	.amdhsa_kernel _Z20warp_exchange_kernelILj256ELj16ELj16EN6common25StripedToBlockedShuffleOpEoEvPT3_j
		.amdhsa_group_segment_fixed_size 0
		.amdhsa_private_segment_fixed_size 272
		.amdhsa_kernarg_size 12
		.amdhsa_user_sgpr_count 8
		.amdhsa_user_sgpr_private_segment_buffer 1
		.amdhsa_user_sgpr_dispatch_ptr 0
		.amdhsa_user_sgpr_queue_ptr 0
		.amdhsa_user_sgpr_kernarg_segment_ptr 1
		.amdhsa_user_sgpr_dispatch_id 0
		.amdhsa_user_sgpr_flat_scratch_init 1
		.amdhsa_user_sgpr_kernarg_preload_length 0
		.amdhsa_user_sgpr_kernarg_preload_offset 0
		.amdhsa_user_sgpr_private_segment_size 0
		.amdhsa_uses_dynamic_stack 0
		.amdhsa_system_sgpr_private_segment_wavefront_offset 1
		.amdhsa_system_sgpr_workgroup_id_x 1
		.amdhsa_system_sgpr_workgroup_id_y 0
		.amdhsa_system_sgpr_workgroup_id_z 0
		.amdhsa_system_sgpr_workgroup_info 0
		.amdhsa_system_vgpr_workitem_id 0
		.amdhsa_next_free_vgpr 98
		.amdhsa_next_free_sgpr 10
		.amdhsa_accum_offset 100
		.amdhsa_reserve_vcc 1
		.amdhsa_reserve_flat_scratch 0
		.amdhsa_float_round_mode_32 0
		.amdhsa_float_round_mode_16_64 0
		.amdhsa_float_denorm_mode_32 3
		.amdhsa_float_denorm_mode_16_64 3
		.amdhsa_dx10_clamp 1
		.amdhsa_ieee_mode 1
		.amdhsa_fp16_overflow 0
		.amdhsa_tg_split 0
		.amdhsa_exception_fp_ieee_invalid_op 0
		.amdhsa_exception_fp_denorm_src 0
		.amdhsa_exception_fp_ieee_div_zero 0
		.amdhsa_exception_fp_ieee_overflow 0
		.amdhsa_exception_fp_ieee_underflow 0
		.amdhsa_exception_fp_ieee_inexact 0
		.amdhsa_exception_int_div_zero 0
	.end_amdhsa_kernel
	.section	.text._Z20warp_exchange_kernelILj256ELj16ELj16EN6common25StripedToBlockedShuffleOpEoEvPT3_j,"axG",@progbits,_Z20warp_exchange_kernelILj256ELj16ELj16EN6common25StripedToBlockedShuffleOpEoEvPT3_j,comdat
.Lfunc_end86:
	.size	_Z20warp_exchange_kernelILj256ELj16ELj16EN6common25StripedToBlockedShuffleOpEoEvPT3_j, .Lfunc_end86-_Z20warp_exchange_kernelILj256ELj16ELj16EN6common25StripedToBlockedShuffleOpEoEvPT3_j
                                        ; -- End function
	.section	.AMDGPU.csdata,"",@progbits
; Kernel info:
; codeLenInByte = 6228
; NumSgprs: 14
; NumVgprs: 98
; NumAgprs: 0
; TotalNumVgprs: 98
; ScratchSize: 272
; MemoryBound: 0
; FloatMode: 240
; IeeeMode: 1
; LDSByteSize: 0 bytes/workgroup (compile time only)
; SGPRBlocks: 1
; VGPRBlocks: 12
; NumSGPRsForWavesPerEU: 14
; NumVGPRsForWavesPerEU: 98
; AccumOffset: 100
; Occupancy: 4
; WaveLimiterHint : 0
; COMPUTE_PGM_RSRC2:SCRATCH_EN: 1
; COMPUTE_PGM_RSRC2:USER_SGPR: 8
; COMPUTE_PGM_RSRC2:TRAP_HANDLER: 0
; COMPUTE_PGM_RSRC2:TGID_X_EN: 1
; COMPUTE_PGM_RSRC2:TGID_Y_EN: 0
; COMPUTE_PGM_RSRC2:TGID_Z_EN: 0
; COMPUTE_PGM_RSRC2:TIDIG_COMP_CNT: 0
; COMPUTE_PGM_RSRC3_GFX90A:ACCUM_OFFSET: 24
; COMPUTE_PGM_RSRC3_GFX90A:TG_SPLIT: 0
	.section	.text._Z20warp_exchange_kernelILj256ELj16ELj32EN6common25StripedToBlockedShuffleOpEoEvPT3_j,"axG",@progbits,_Z20warp_exchange_kernelILj256ELj16ELj32EN6common25StripedToBlockedShuffleOpEoEvPT3_j,comdat
	.protected	_Z20warp_exchange_kernelILj256ELj16ELj32EN6common25StripedToBlockedShuffleOpEoEvPT3_j ; -- Begin function _Z20warp_exchange_kernelILj256ELj16ELj32EN6common25StripedToBlockedShuffleOpEoEvPT3_j
	.globl	_Z20warp_exchange_kernelILj256ELj16ELj32EN6common25StripedToBlockedShuffleOpEoEvPT3_j
	.p2align	8
	.type	_Z20warp_exchange_kernelILj256ELj16ELj32EN6common25StripedToBlockedShuffleOpEoEvPT3_j,@function
_Z20warp_exchange_kernelILj256ELj16ELj32EN6common25StripedToBlockedShuffleOpEoEvPT3_j: ; @_Z20warp_exchange_kernelILj256ELj16ELj32EN6common25StripedToBlockedShuffleOpEoEvPT3_j
; %bb.0:
	s_load_dword s6, s[4:5], 0x8
	s_add_u32 s0, s0, s9
	s_addc_u32 s1, s1, 0
	v_lshlrev_b32_e32 v64, 4, v0
	v_or_b32_e32 v28, 1, v64
	v_or_b32_e32 v56, 2, v64
	;; [unrolled: 1-line block ×14, first 2 shown]
	s_waitcnt lgkmcnt(0)
	s_cmp_eq_u32 s6, 0
	v_or_b32_e32 v0, 15, v64
	s_cbranch_scc1 .LBB87_3
; %bb.1:
	v_mbcnt_lo_u32_b32 v5, -1, 0
	v_mbcnt_hi_u32_b32 v5, -1, v5
	v_and_b32_e32 v6, 0x60, v5
	v_add_u32_e32 v7, 28, v5
	v_and_or_b32 v7, v7, 31, v6
	v_lshlrev_b32_e32 v66, 2, v7
	v_add_u32_e32 v7, 24, v5
	v_and_or_b32 v7, v7, 31, v6
	v_lshlrev_b32_e32 v67, 2, v7
	;; [unrolled: 3-line block ×3, first 2 shown]
	v_lshlrev_b32_e32 v7, 2, v5
	v_xor_b32_e32 v69, 64, v7
	v_add_u32_e32 v7, 12, v5
	v_and_or_b32 v7, v7, 31, v6
	v_lshlrev_b32_e32 v70, 2, v7
	v_add_u32_e32 v7, 8, v5
	v_and_or_b32 v7, v7, 31, v6
	v_lshlrev_b32_e32 v71, 2, v7
	;; [unrolled: 3-line block ×3, first 2 shown]
	v_bfe_u32 v6, v5, 2, 3
	v_add_u32_e32 v10, 7, v6
	v_mov_b32_e32 v7, 0
	v_and_b32_e32 v11, 7, v10
	v_lshl_add_u32 v74, v11, 4, v7
	v_mov_b32_e32 v11, 0x80
	v_lshl_or_b32 v10, v10, 4, v11
	v_add_u32_e32 v75, 0, v10
	v_add_u32_e32 v10, 6, v6
	v_and_b32_e32 v14, 7, v10
	v_lshl_or_b32 v10, v10, 4, v11
	v_add_u32_e32 v77, 0, v10
	v_add_u32_e32 v10, 5, v6
	v_lshl_add_u32 v73, v6, 4, v7
	v_lshl_add_u32 v76, v14, 4, v7
	v_and_b32_e32 v14, 7, v10
	v_lshl_or_b32 v10, v10, 4, v11
	v_xor_b32_e32 v6, 4, v6
	v_add_u32_e32 v79, 0, v10
	v_add_u32_e32 v10, 7, v6
	v_lshl_add_u32 v78, v14, 4, v7
	v_and_b32_e32 v14, 7, v10
	v_lshl_or_b32 v10, v10, 4, v11
	v_add_u32_e32 v82, 0, v10
	v_add_u32_e32 v10, 6, v6
	v_lshl_add_u32 v80, v6, 4, v7
	v_lshl_add_u32 v81, v14, 4, v7
	v_and_b32_e32 v14, 7, v10
	v_lshl_or_b32 v10, v10, 4, v11
	v_add_u32_e32 v6, 5, v6
	v_add_u32_e32 v84, 0, v10
	v_and_b32_e32 v10, 7, v6
	v_lshl_or_b32 v6, v6, 4, v11
	v_add_u32_e32 v86, 0, v6
	v_and_b32_e32 v6, 3, v5
	v_add_u32_e32 v5, -1, v5
	v_lshl_add_u32 v83, v14, 4, v7
	v_lshl_add_u32 v85, v10, 4, v7
	v_mov_b32_e32 v7, 0x100
	v_and_b32_e32 v5, 3, v5
	v_lshl_add_u32 v88, v5, 4, v7
	v_xor_b32_e32 v5, 2, v6
	v_lshl_add_u32 v89, v5, 4, v7
	v_add_u32_e32 v5, 3, v5
	v_mov_b32_e32 v1, 0
	v_lshl_add_u32 v87, v6, 4, v7
	v_and_b32_e32 v6, 3, v5
	v_lshlrev_b32_e32 v5, 4, v5
	v_mov_b32_e32 v65, v1
	v_lshl_add_u32 v90, v6, 4, v7
	v_or_b32_e32 v6, 64, v5
	v_or_b32_e32 v5, 0xc0, v5
	v_pk_mov_b32 v[2:3], 0, 0
	v_mov_b32_e32 v13, v1
	v_mov_b32_e32 v17, v1
	;; [unrolled: 1-line block ×8, first 2 shown]
	v_add_u32_e32 v91, 0x100, v6
	v_add_u32_e32 v92, 0x100, v5
	v_pk_mov_b32 v[14:15], 0, 0
	v_pk_mov_b32 v[18:19], 0, 0
	;; [unrolled: 1-line block ×8, first 2 shown]
	v_mov_b32_e32 v45, v1
	v_pk_mov_b32 v[46:47], 0, 0
	v_mov_b32_e32 v49, v1
	v_pk_mov_b32 v[50:51], 0, 0
	v_mov_b32_e32 v5, v1
	v_pk_mov_b32 v[6:7], 0, 0
	v_mov_b32_e32 v53, v1
	v_pk_mov_b32 v[54:55], 0, 0
	v_mov_b32_e32 v57, v1
	v_pk_mov_b32 v[58:59], 0, 0
	v_mov_b32_e32 v29, v1
	v_pk_mov_b32 v[30:31], 0, 0
	v_pk_mov_b32 v[62:63], 0, 0
	v_pk_mov_b32 v[60:61], v[64:65], v[64:65] op_sel:[0,1]
.LBB87_2:                               ; =>This Inner Loop Header: Depth=1
	buffer_store_dword v57, off, s[0:3], 0 offset:36
	buffer_store_dword v56, off, s[0:3], 0 offset:32
	;; [unrolled: 1-line block ×8, first 2 shown]
	s_waitcnt vmcnt(14)
	buffer_store_dword v5, off, s[0:3], 0 offset:68
	buffer_store_dword v4, off, s[0:3], 0 offset:64
	;; [unrolled: 1-line block ×32, first 2 shown]
	s_waitcnt vmcnt(40)
	buffer_store_dword v21, off, s[0:3], 0 offset:196
	buffer_store_dword v20, off, s[0:3], 0 offset:192
	;; [unrolled: 1-line block ×12, first 2 shown]
	ds_bpermute_b32 v12, v72, v12
	ds_bpermute_b32 v56, v66, v56
	;; [unrolled: 1-line block ×52, first 2 shown]
	buffer_store_dword v1, off, s[0:3], 0 offset:244
	buffer_store_dword v0, off, s[0:3], 0 offset:240
	;; [unrolled: 1-line block ×4, first 2 shown]
	ds_bpermute_b32 v3, v72, v3
	buffer_store_dword v61, off, s[0:3], 0 offset:4
	buffer_store_dword v60, off, s[0:3], 0
	buffer_store_dword v63, off, s[0:3], 0 offset:12
	buffer_store_dword v62, off, s[0:3], 0 offset:8
	;; [unrolled: 1-line block ×6, first 2 shown]
	buffer_store_dword v61, v73, s[0:3], 0 offen offset:4
	buffer_store_dword v63, v73, s[0:3], 0 offen offset:12
	buffer_store_dword v62, v73, s[0:3], 0 offen offset:8
	buffer_store_dword v60, v73, s[0:3], 0 offen
	buffer_store_dword v31, v73, s[0:3], 0 offen offset:140
	buffer_store_dword v29, v73, s[0:3], 0 offen offset:132
	;; [unrolled: 1-line block ×4, first 2 shown]
	s_waitcnt lgkmcnt(14)
	buffer_store_dword v57, v74, s[0:3], 0 offen offset:4
	buffer_store_dword v59, v74, s[0:3], 0 offen offset:12
	buffer_store_dword v58, v74, s[0:3], 0 offen offset:8
	buffer_store_dword v56, v74, s[0:3], 0 offen
	buffer_store_dword v55, v75, s[0:3], 0 offen offset:12
	buffer_store_dword v53, v75, s[0:3], 0 offen offset:4
	buffer_store_dword v54, v75, s[0:3], 0 offen offset:8
	buffer_store_dword v52, v75, s[0:3], 0 offen
	;; [unrolled: 4-line block ×7, first 2 shown]
	buffer_store_dword v39, v80, s[0:3], 0 offen offset:140
	buffer_store_dword v37, v80, s[0:3], 0 offen offset:132
	;; [unrolled: 1-line block ×7, first 2 shown]
	buffer_store_dword v32, v81, s[0:3], 0 offen
	s_waitcnt lgkmcnt(8)
	buffer_store_dword v23, v83, s[0:3], 0 offen offset:12
	buffer_store_dword v22, v83, s[0:3], 0 offen offset:8
	buffer_store_dword v21, v83, s[0:3], 0 offen offset:4
	buffer_store_dword v20, v83, s[0:3], 0 offen
	s_waitcnt lgkmcnt(1)
	buffer_store_dword v15, v85, s[0:3], 0 offen offset:12
	buffer_store_dword v14, v85, s[0:3], 0 offen offset:8
	;; [unrolled: 1-line block ×6, first 2 shown]
	buffer_store_dword v24, v82, s[0:3], 0 offen
	buffer_store_dword v19, v84, s[0:3], 0 offen offset:12
	buffer_store_dword v18, v84, s[0:3], 0 offen offset:8
	;; [unrolled: 1-line block ×3, first 2 shown]
	buffer_store_dword v16, v84, s[0:3], 0 offen
	s_waitcnt lgkmcnt(0)
	buffer_store_dword v3, v86, s[0:3], 0 offen offset:12
	buffer_load_dword v8, off, s[0:3], 0 offset:236
	ds_bpermute_b32 v2, v72, v2
	buffer_store_dword v12, v85, s[0:3], 0 offen
	buffer_load_dword v5, off, s[0:3], 0 offset:80
	buffer_load_dword v7, off, s[0:3], 0 offset:88
	;; [unrolled: 1-line block ×3, first 2 shown]
	ds_bpermute_b32 v1, v72, v1
	buffer_load_dword v4, off, s[0:3], 0 offset:92
	s_waitcnt lgkmcnt(1)
	buffer_store_dword v2, v86, s[0:3], 0 offen offset:8
	s_waitcnt lgkmcnt(0)
	buffer_store_dword v1, v86, s[0:3], 0 offen offset:4
	buffer_load_dword v1, off, s[0:3], 0 offset:152
	s_nop 0
	buffer_load_dword v2, off, s[0:3], 0 offset:156
	ds_bpermute_b32 v0, v72, v0
	s_add_i32 s6, s6, -1
	s_cmp_lg_u32 s6, 0
	s_waitcnt lgkmcnt(0)
	buffer_store_dword v0, v86, s[0:3], 0 offen
	buffer_load_dword v0, off, s[0:3], 0 offset:144
	s_nop 0
	buffer_load_dword v9, off, s[0:3], 0 offset:160
	buffer_load_dword v10, off, s[0:3], 0 offset:148
	;; [unrolled: 1-line block ×11, first 2 shown]
	s_waitcnt vmcnt(22)
	ds_bpermute_b32 v8, v67, v8
	s_waitcnt vmcnt(20)
	ds_bpermute_b32 v5, v68, v5
	;; [unrolled: 2-line block ×4, first 2 shown]
	s_waitcnt lgkmcnt(3)
	buffer_store_dword v8, off, s[0:3], 0 offset:236
	buffer_load_dword v8, off, s[0:3], 0 offset:236
	s_nop 0
	buffer_load_dword v19, off, s[0:3], 0 offset:208
	s_waitcnt lgkmcnt(1)
	buffer_store_dword v7, off, s[0:3], 0 offset:88
	s_waitcnt lgkmcnt(0)
	buffer_store_dword v6, off, s[0:3], 0 offset:84
	buffer_store_dword v5, off, s[0:3], 0 offset:80
	s_waitcnt vmcnt(23)
	ds_bpermute_b32 v4, v68, v4
	buffer_load_dword v6, off, s[0:3], 0 offset:80
	buffer_load_dword v20, off, s[0:3], 0 offset:84
	;; [unrolled: 1-line block ×13, first 2 shown]
	s_waitcnt vmcnt(32)
	ds_bpermute_b32 v2, v72, v2
	ds_bpermute_b32 v1, v72, v1
	s_waitcnt vmcnt(27)
	ds_bpermute_b32 v7, v69, v11
	s_waitcnt lgkmcnt(3)
	buffer_store_dword v4, off, s[0:3], 0 offset:92
	ds_bpermute_b32 v4, v72, v10
	s_waitcnt vmcnt(27)
	ds_bpermute_b32 v11, v68, v12
	ds_bpermute_b32 v0, v72, v0
	s_waitcnt vmcnt(26)
	ds_bpermute_b32 v12, v67, v13
	buffer_load_dword v31, off, s[0:3], 0 offset:140
	buffer_load_dword v10, off, s[0:3], 0 offset:200
	s_waitcnt lgkmcnt(6)
	buffer_store_dword v2, off, s[0:3], 0 offset:156
	s_waitcnt lgkmcnt(5)
	buffer_store_dword v1, off, s[0:3], 0 offset:152
	;; [unrolled: 2-line block ×5, first 2 shown]
	s_waitcnt vmcnt(32)
	ds_bpermute_b32 v1, v68, v14
	s_waitcnt vmcnt(31)
	ds_bpermute_b32 v2, v66, v15
	buffer_load_dword v12, off, s[0:3], 0 offset:216
	buffer_load_dword v13, off, s[0:3], 0 offset:228
	buffer_load_dword v32, off, s[0:3], 0 offset:240
	buffer_load_dword v33, off, s[0:3], 0 offset:204
	s_nop 0
	buffer_store_dword v4, off, s[0:3], 0 offset:148
	buffer_store_dword v0, off, s[0:3], 0 offset:144
	s_waitcnt vmcnt(36)
	ds_bpermute_b32 v0, v68, v16
	buffer_load_dword v4, off, s[0:3], 0 offset:92
	s_waitcnt lgkmcnt(2)
	buffer_store_dword v1, off, s[0:3], 0 offset:212
	s_waitcnt lgkmcnt(1)
	buffer_store_dword v2, off, s[0:3], 0 offset:248
	buffer_load_dword v7, off, s[0:3], 0 offset:248
	buffer_load_dword v14, off, s[0:3], 0 offset:212
	;; [unrolled: 1-line block ×6, first 2 shown]
	s_waitcnt vmcnt(44)
	ds_bpermute_b32 v17, v71, v17
	s_waitcnt lgkmcnt(1)
	buffer_store_dword v0, off, s[0:3], 0 offset:220
	buffer_load_dword v16, off, s[0:3], 0 offset:220
	buffer_load_dword v37, off, s[0:3], 0 offset:172
	;; [unrolled: 1-line block ×4, first 2 shown]
	ds_bpermute_b32 v9, v71, v9
	s_waitcnt vmcnt(47)
	ds_bpermute_b32 v18, v69, v18
	ds_bpermute_b32 v3, v67, v3
	s_waitcnt vmcnt(40)
	v_mov_b32_dpp v6, v6 quad_perm:[3,0,1,2] row_mask:0xf bank_mask:0xf
	s_waitcnt vmcnt(33)
	ds_bpermute_b32 v1, v72, v5
	s_waitcnt vmcnt(32)
	ds_bpermute_b32 v2, v72, v26
	;; [unrolled: 2-line block ×4, first 2 shown]
	ds_bpermute_b32 v0, v68, v19
	v_mov_b32_dpp v19, v20 quad_perm:[3,0,1,2] row_mask:0xf bank_mask:0xf
	ds_bpermute_b32 v20, v67, v24
	s_waitcnt lgkmcnt(3)
	buffer_store_dword v26, off, s[0:3], 0 offset:232
	s_waitcnt lgkmcnt(2)
	buffer_store_dword v27, off, s[0:3], 0 offset:244
	v_mov_b32_dpp v24, v25 quad_perm:[3,0,1,2] row_mask:0xf bank_mask:0xf
	ds_bpermute_b32 v23, v67, v23
	buffer_load_dword v25, off, s[0:3], 0 offset:128
	buffer_load_dword v26, off, s[0:3], 0 offset:132
	s_waitcnt vmcnt(33)
	ds_bpermute_b32 v5, v72, v29
	s_waitcnt lgkmcnt(2)
	buffer_store_dword v20, off, s[0:3], 0 offset:100
	ds_bpermute_b32 v20, v66, v21
	ds_bpermute_b32 v21, v66, v22
	s_waitcnt lgkmcnt(3)
	buffer_store_dword v23, off, s[0:3], 0 offset:108
	s_waitcnt vmcnt(34)
	ds_bpermute_b32 v11, v72, v30
	v_mov_b32_dpp v30, v0 quad_perm:[1,2,3,0] row_mask:0xf bank_mask:0xf
	s_waitcnt lgkmcnt(2)
	buffer_store_dword v20, off, s[0:3], 0 offset:116
	buffer_load_dword v20, off, s[0:3], 0 offset:100
	s_nop 0
	buffer_load_dword v22, off, s[0:3], 0 offset:108
	buffer_load_dword v23, off, s[0:3], 0 offset:116
	s_waitcnt vmcnt(19)
	v_mov_b32_dpp v14, v14 quad_perm:[1,2,3,0] row_mask:0xf bank_mask:0xf
	s_waitcnt lgkmcnt(1)
	buffer_store_dword v21, off, s[0:3], 0 offset:120
	buffer_load_dword v21, off, s[0:3], 0 offset:120
	s_nop 0
	buffer_store_dword v17, off, s[0:3], 0 offset:164
	buffer_store_dword v9, off, s[0:3], 0 offset:160
	v_mov_b32_dpp v4, v4 quad_perm:[3,0,1,2] row_mask:0xf bank_mask:0xf
	buffer_load_dword v9, off, s[0:3], 0 offset:160
	buffer_load_dword v17, off, s[0:3], 0 offset:164
	s_waitcnt vmcnt(24)
	v_mov_b32_dpp v15, v15 quad_perm:[2,3,0,1] row_mask:0xf bank_mask:0xf
	s_waitcnt vmcnt(23)
	v_mov_b32_dpp v27, v34 quad_perm:[2,3,0,1] row_mask:0xf bank_mask:0xf
	;; [unrolled: 2-line block ×4, first 2 shown]
	v_mov_b32_dpp v12, v12 quad_perm:[1,2,3,0] row_mask:0xf bank_mask:0xf
	buffer_load_dword v34, off, s[0:3], 0 offset:232
	buffer_load_dword v35, off, s[0:3], 0 offset:244
	;; [unrolled: 1-line block ×3, first 2 shown]
	s_waitcnt vmcnt(22)
	v_mov_b32_dpp v16, v16 quad_perm:[1,2,3,0] row_mask:0xf bank_mask:0xf
	buffer_store_dword v1, v87, s[0:3], 0 offen offset:64
	buffer_store_dword v2, v87, s[0:3], 0 offen offset:68
	;; [unrolled: 1-line block ×3, first 2 shown]
	s_waitcnt lgkmcnt(0)
	buffer_store_dword v11, v87, s[0:3], 0 offen offset:76
	buffer_store_dword v6, v88, s[0:3], 0 offen offset:64
	;; [unrolled: 1-line block ×9, first 2 shown]
	buffer_store_dword v30, v91, s[0:3], 0 offen
	buffer_store_dword v14, v91, s[0:3], 0 offen offset:4
	buffer_store_dword v12, v91, s[0:3], 0 offen offset:8
	;; [unrolled: 1-line block ×3, first 2 shown]
	buffer_load_dword v6, off, s[0:3], 0 offset:328
	s_nop 0
	buffer_load_dword v12, off, s[0:3], 0 offset:68
	buffer_load_dword v14, off, s[0:3], 0 offset:64
	;; [unrolled: 1-line block ×10, first 2 shown]
	s_waitcnt vmcnt(47)
	ds_bpermute_b32 v38, v69, v38
	ds_bpermute_b32 v10, v69, v10
	buffer_load_dword v40, off, s[0:3], 0 offset:180
	buffer_load_dword v41, off, s[0:3], 0 offset:184
	buffer_load_dword v42, off, s[0:3], 0 offset:188
	buffer_load_dword v4, off, s[0:3], 0 offset:320
	v_mov_b32_dpp v31, v31 quad_perm:[2,3,0,1] row_mask:0xf bank_mask:0xf
	buffer_store_dword v18, off, s[0:3], 0 offset:76
	s_waitcnt lgkmcnt(1)
	buffer_store_dword v38, off, s[0:3], 0 offset:72
	buffer_load_dword v38, off, s[0:3], 0 offset:72
	v_mov_b32_dpp v33, v33 quad_perm:[1,2,3,0] row_mask:0xf bank_mask:0xf
	v_mov_b32_dpp v8, v8 quad_perm:[1,2,3,0] row_mask:0xf bank_mask:0xf
	;; [unrolled: 1-line block ×3, first 2 shown]
	s_waitcnt vmcnt(50)
	v_mov_b32_dpp v25, v25 quad_perm:[2,3,0,1] row_mask:0xf bank_mask:0xf
	s_waitcnt vmcnt(49)
	v_mov_b32_dpp v26, v26 quad_perm:[2,3,0,1] row_mask:0xf bank_mask:0xf
	;; [unrolled: 2-line block ×6, first 2 shown]
	s_waitcnt vmcnt(16)
	ds_bpermute_b32 v12, v69, v12
	s_waitcnt vmcnt(15)
	ds_bpermute_b32 v14, v69, v14
	s_waitcnt vmcnt(14)
	ds_bpermute_b32 v15, v69, v15
	s_waitcnt vmcnt(13)
	ds_bpermute_b32 v16, v69, v16
	s_waitcnt vmcnt(12)
	ds_bpermute_b32 v19, v67, v19
	s_waitcnt vmcnt(11)
	ds_bpermute_b32 v24, v67, v24
	s_waitcnt lgkmcnt(5)
	buffer_store_dword v12, off, s[0:3], 0 offset:68
	buffer_load_dword v12, off, s[0:3], 0 offset:68
	s_waitcnt vmcnt(11)
	ds_bpermute_b32 v28, v66, v28
	s_waitcnt lgkmcnt(5)
	buffer_store_dword v14, off, s[0:3], 0 offset:64
	buffer_load_dword v14, off, s[0:3], 0 offset:64
	s_nop 0
	buffer_load_dword v18, off, s[0:3], 0 offset:76
	buffer_load_dword v43, off, s[0:3], 0 offset:136
	s_waitcnt vmcnt(13)
	ds_bpermute_b32 v30, v66, v30
	s_waitcnt lgkmcnt(5)
	buffer_store_dword v15, off, s[0:3], 0 offset:196
	s_waitcnt lgkmcnt(4)
	buffer_store_dword v16, off, s[0:3], 0 offset:192
	buffer_store_dword v10, off, s[0:3], 0 offset:200
	buffer_load_dword v15, off, s[0:3], 0 offset:196
	s_waitcnt vmcnt(15)
	ds_bpermute_b32 v41, v70, v41
	buffer_load_dword v16, off, s[0:3], 0 offset:192
	buffer_load_dword v10, off, s[0:3], 0 offset:200
	buffer_load_dword v44, off, s[0:3], 0
	buffer_load_dword v45, off, s[0:3], 0 offset:4
	buffer_load_dword v46, off, s[0:3], 0 offset:8
	;; [unrolled: 1-line block ×13, first 2 shown]
	s_waitcnt vmcnt(30)
	ds_bpermute_b32 v42, v70, v42
	s_waitcnt lgkmcnt(4)
	buffer_store_dword v24, off, s[0:3], 0 offset:96
	ds_bpermute_b32 v24, v71, v27
	ds_bpermute_b32 v27, v71, v37
	buffer_store_dword v19, off, s[0:3], 0 offset:104
	buffer_load_dword v37, off, s[0:3], 0 offset:96
	ds_bpermute_b32 v40, v70, v40
	buffer_load_dword v19, off, s[0:3], 0 offset:104
	s_waitcnt lgkmcnt(1)
	buffer_store_dword v27, off, s[0:3], 0 offset:172
	buffer_store_dword v24, off, s[0:3], 0 offset:168
	buffer_load_dword v24, off, s[0:3], 0 offset:168
	s_nop 0
	buffer_load_dword v27, off, s[0:3], 0 offset:172
	v_mov_b32_dpp v17, v17 quad_perm:[2,3,0,1] row_mask:0xf bank_mask:0xf
	buffer_store_dword v28, off, s[0:3], 0 offset:112
	ds_bpermute_b32 v28, v70, v29
	buffer_load_dword v62, off, s[0:3], 0 offset:376
	buffer_load_dword v65, off, s[0:3], 0 offset:372
	;; [unrolled: 1-line block ×4, first 2 shown]
	s_waitcnt vmcnt(37)
	v_mov_b32_dpp v12, v12 quad_perm:[3,0,1,2] row_mask:0xf bank_mask:0xf
	s_waitcnt lgkmcnt(0)
	buffer_store_dword v28, off, s[0:3], 0 offset:176
	buffer_load_dword v28, off, s[0:3], 0 offset:176
	s_nop 0
	buffer_store_dword v30, off, s[0:3], 0 offset:124
	buffer_store_dword v42, off, s[0:3], 0 offset:188
	;; [unrolled: 1-line block ×4, first 2 shown]
	ds_bpermute_b32 v30, v66, v36
	s_waitcnt vmcnt(40)
	v_mov_b32_dpp v18, v18 quad_perm:[3,0,1,2] row_mask:0xf bank_mask:0xf
	v_mov_b32_dpp v14, v14 quad_perm:[3,0,1,2] row_mask:0xf bank_mask:0xf
	;; [unrolled: 1-line block ×3, first 2 shown]
	buffer_load_dword v38, off, s[0:3], 0 offset:380
	buffer_load_dword v40, off, s[0:3], 0 offset:124
	s_waitcnt vmcnt(41)
	v_mov_b32_dpp v41, v43 quad_perm:[2,3,0,1] row_mask:0xf bank_mask:0xf
	buffer_load_dword v42, off, s[0:3], 0 offset:180
	buffer_load_dword v43, off, s[0:3], 0 offset:184
	;; [unrolled: 1-line block ×3, first 2 shown]
	s_waitcnt vmcnt(39)
	v_mov_b32_dpp v16, v16 quad_perm:[1,2,3,0] row_mask:0xf bank_mask:0xf
	v_mov_b32_dpp v15, v15 quad_perm:[1,2,3,0] row_mask:0xf bank_mask:0xf
	s_waitcnt vmcnt(38)
	v_mov_b32_dpp v10, v10 quad_perm:[1,2,3,0] row_mask:0xf bank_mask:0xf
	s_waitcnt vmcnt(37)
	buffer_store_dword v44, v87, s[0:3], 0 offen
	s_waitcnt vmcnt(37)
	buffer_store_dword v45, v87, s[0:3], 0 offen offset:4
	s_waitcnt vmcnt(37)
	buffer_store_dword v46, v87, s[0:3], 0 offen offset:8
	buffer_store_dword v39, v87, s[0:3], 0 offen offset:12
	buffer_store_dword v14, v88, s[0:3], 0 offen
	buffer_store_dword v12, v88, s[0:3], 0 offen offset:4
	buffer_store_dword v36, v88, s[0:3], 0 offen offset:8
	buffer_store_dword v18, v88, s[0:3], 0 offen offset:12
	buffer_store_dword v25, v89, s[0:3], 0 offen
	buffer_store_dword v26, v89, s[0:3], 0 offen offset:4
	;; [unrolled: 4-line block ×3, first 2 shown]
	buffer_store_dword v10, v90, s[0:3], 0 offen offset:8
	buffer_store_dword v33, v90, s[0:3], 0 offen offset:12
	s_waitcnt vmcnt(50)
	ds_bpermute_b32 v18, v71, v47
	s_waitcnt vmcnt(49)
	ds_bpermute_b32 v25, v71, v48
	;; [unrolled: 2-line block ×4, first 2 shown]
	buffer_load_dword v12, off, s[0:3], 0 offset:300
	buffer_load_dword v14, off, s[0:3], 0 offset:296
	;; [unrolled: 1-line block ×4, first 2 shown]
	s_waitcnt vmcnt(41)
	v_mov_b32_dpp v10, v37 quad_perm:[3,0,1,2] row_mask:0xf bank_mask:0xf
	s_waitcnt lgkmcnt(4)
	buffer_store_dword v30, off, s[0:3], 0 offset:252
	buffer_load_dword v30, off, s[0:3], 0 offset:252
	s_nop 0
	buffer_load_dword v33, off, s[0:3], 0 offset:316
	buffer_load_dword v36, off, s[0:3], 0 offset:312
	;; [unrolled: 1-line block ×7, first 2 shown]
	s_waitcnt vmcnt(49)
	v_mov_b32_dpp v19, v19 quad_perm:[3,0,1,2] row_mask:0xf bank_mask:0xf
	s_waitcnt vmcnt(46)
	v_mov_b32_dpp v24, v24 quad_perm:[2,3,0,1] row_mask:0xf bank_mask:0xf
	s_waitcnt vmcnt(45)
	v_mov_b32_dpp v27, v27 quad_perm:[2,3,0,1] row_mask:0xf bank_mask:0xf
	s_waitcnt lgkmcnt(3)
	buffer_store_dword v18, v87, s[0:3], 0 offen offset:128
	s_waitcnt lgkmcnt(2)
	buffer_store_dword v25, v87, s[0:3], 0 offen offset:132
	;; [unrolled: 2-line block ×4, first 2 shown]
	buffer_store_dword v10, v88, s[0:3], 0 offen offset:128
	buffer_store_dword v20, v88, s[0:3], 0 offen offset:132
	;; [unrolled: 1-line block ×9, first 2 shown]
	v_mov_b32_dpp v8, v3 quad_perm:[1,2,3,0] row_mask:0xf bank_mask:0xf
	buffer_load_dword v17, off, s[0:3], 0 offset:444
	v_mov_b32_dpp v9, v13 quad_perm:[1,2,3,0] row_mask:0xf bank_mask:0xf
	v_mov_b32_dpp v10, v34 quad_perm:[1,2,3,0] row_mask:0xf bank_mask:0xf
	buffer_store_dword v8, v90, s[0:3], 0 offen offset:128
	buffer_store_dword v9, v90, s[0:3], 0 offen offset:132
	;; [unrolled: 1-line block ×3, first 2 shown]
	v_mov_b32_dpp v22, v23 quad_perm:[3,0,1,2] row_mask:0xf bank_mask:0xf
	buffer_load_dword v8, off, s[0:3], 0 offset:384
	buffer_load_dword v9, off, s[0:3], 0 offset:388
	;; [unrolled: 1-line block ×6, first 2 shown]
	ds_bpermute_b32 v19, v66, v32
	s_waitcnt vmcnt(62)
	v_mov_b32_dpp v20, v29 quad_perm:[3,0,1,2] row_mask:0xf bank_mask:0xf
	buffer_load_dword v29, off, s[0:3], 0 offset:272
	buffer_load_dword v32, off, s[0:3], 0 offset:276
	;; [unrolled: 1-line block ×6, first 2 shown]
	ds_bpermute_b32 v44, v70, v52
	ds_bpermute_b32 v45, v70, v53
	;; [unrolled: 1-line block ×4, first 2 shown]
	s_waitcnt lgkmcnt(3)
	buffer_store_dword v44, v87, s[0:3], 0 offen offset:192
	s_waitcnt lgkmcnt(2)
	buffer_store_dword v45, v87, s[0:3], 0 offen offset:196
	s_waitcnt lgkmcnt(0)
	buffer_store_dword v46, v87, s[0:3], 0 offen offset:200
	buffer_load_dword v49, off, s[0:3], 0 offset:340
	buffer_load_dword v99, off, s[0:3], 0 offset:348
	v_mov_b32_dpp v48, v19 quad_perm:[1,2,3,0] row_mask:0xf bank_mask:0xf
	buffer_store_dword v47, v87, s[0:3], 0 offen offset:204
	v_mov_b32_dpp v50, v51 quad_perm:[1,2,3,0] row_mask:0xf bank_mask:0xf
	s_waitcnt vmcnt(62)
	v_mov_b32_dpp v28, v28 quad_perm:[2,3,0,1] row_mask:0xf bank_mask:0xf
	v_mov_b32_dpp v13, v40 quad_perm:[3,0,1,2] row_mask:0xf bank_mask:0xf
	;; [unrolled: 1-line block ×4, first 2 shown]
	buffer_store_dword v20, v88, s[0:3], 0 offen offset:192
	buffer_store_dword v22, v88, s[0:3], 0 offen offset:196
	buffer_store_dword v21, v88, s[0:3], 0 offen offset:200
	buffer_store_dword v13, v88, s[0:3], 0 offen offset:204
	buffer_store_dword v28, v89, s[0:3], 0 offen offset:192
	buffer_store_dword v40, v89, s[0:3], 0 offen offset:196
	v_mov_b32_dpp v43, v56 quad_perm:[2,3,0,1] row_mask:0xf bank_mask:0xf
	buffer_load_dword v13, off, s[0:3], 0 offset:400
	buffer_load_dword v20, off, s[0:3], 0 offset:404
	;; [unrolled: 1-line block ×6, first 2 shown]
	v_mov_b32_dpp v28, v35 quad_perm:[1,2,3,0] row_mask:0xf bank_mask:0xf
	s_waitcnt vmcnt(59)
	v_mov_b32_dpp v59, v12 quad_perm:[2,3,0,1] row_mask:0xf bank_mask:0xf
	s_waitcnt vmcnt(58)
	v_mov_b32_dpp v58, v14 quad_perm:[2,3,0,1] row_mask:0xf bank_mask:0xf
	s_waitcnt vmcnt(54)
	v_mov_b32_dpp v30, v30 quad_perm:[1,2,3,0] row_mask:0xf bank_mask:0xf
	buffer_store_dword v42, v89, s[0:3], 0 offen offset:200
	buffer_store_dword v43, v89, s[0:3], 0 offen offset:204
	buffer_store_dword v48, v92, s[0:3], 0 offen
	buffer_store_dword v28, v92, s[0:3], 0 offen offset:4
	buffer_store_dword v7, v92, s[0:3], 0 offen offset:8
	;; [unrolled: 1-line block ×3, first 2 shown]
	buffer_load_dword v102, off, s[0:3], 0 offset:464
	buffer_load_dword v103, off, s[0:3], 0 offset:468
	;; [unrolled: 1-line block ×4, first 2 shown]
	v_mov_b32_dpp v57, v15 quad_perm:[2,3,0,1] row_mask:0xf bank_mask:0xf
	buffer_store_dword v11, off, s[0:3], 0 offset:28
	buffer_load_dword v106, off, s[0:3], 0 offset:480
	buffer_load_dword v107, off, s[0:3], 0 offset:484
	;; [unrolled: 1-line block ×4, first 2 shown]
	s_nop 0
	buffer_load_dword v11, off, s[0:3], 0 offset:396
	s_nop 0
	buffer_store_dword v5, off, s[0:3], 0 offset:24
	buffer_store_dword v2, off, s[0:3], 0 offset:20
	;; [unrolled: 1-line block ×14, first 2 shown]
	buffer_load_dword v63, off, s[0:3], 0 offset:268
	s_waitcnt vmcnt(62)
	v_mov_b32_dpp v55, v33 quad_perm:[3,0,1,2] row_mask:0xf bank_mask:0xf
	v_mov_b32_dpp v44, v61 quad_perm:[2,3,0,1] row_mask:0xf bank_mask:0xf
	;; [unrolled: 1-line block ×7, first 2 shown]
	s_waitcnt vmcnt(54)
	v_mov_b32_dpp v28, v29 quad_perm:[1,2,3,0] row_mask:0xf bank_mask:0xf
	s_waitcnt vmcnt(53)
	v_mov_b32_dpp v29, v32 quad_perm:[1,2,3,0] row_mask:0xf bank_mask:0xf
	;; [unrolled: 2-line block ×3, first 2 shown]
	v_mov_b32_dpp v34, v24 quad_perm:[2,3,0,1] row_mask:0xf bank_mask:0xf
	v_mov_b32_dpp v24, v23 quad_perm:[3,0,1,2] row_mask:0xf bank_mask:0xf
	buffer_load_dword v23, off, s[0:3], 0 offset:460
	buffer_load_dword v2, off, s[0:3], 0 offset:504
	;; [unrolled: 1-line block ×6, first 2 shown]
	s_waitcnt vmcnt(57)
	v_mov_b32_dpp v31, v37 quad_perm:[1,2,3,0] row_mask:0xf bank_mask:0xf
	v_mov_b32_dpp v53, v39 quad_perm:[3,0,1,2] row_mask:0xf bank_mask:0xf
	;; [unrolled: 1-line block ×4, first 2 shown]
	s_waitcnt vmcnt(51)
	v_mov_b32_dpp v49, v49 quad_perm:[1,2,3,0] row_mask:0xf bank_mask:0xf
	s_waitcnt vmcnt(50)
	v_mov_b32_dpp v51, v99 quad_perm:[1,2,3,0] row_mask:0xf bank_mask:0xf
	v_mov_b32_dpp v45, v96 quad_perm:[2,3,0,1] row_mask:0xf bank_mask:0xf
	;; [unrolled: 1-line block ×9, first 2 shown]
	s_waitcnt vmcnt(42)
	v_mov_b32_dpp v36, v13 quad_perm:[1,2,3,0] row_mask:0xf bank_mask:0xf
	s_waitcnt vmcnt(41)
	v_mov_b32_dpp v37, v20 quad_perm:[1,2,3,0] row_mask:0xf bank_mask:0xf
	;; [unrolled: 2-line block ×18, first 2 shown]
	buffer_load_dword v5, off, s[0:3], 0 offset:324
	buffer_load_dword v60, off, s[0:3], 0 offset:256
	;; [unrolled: 1-line block ×7, first 2 shown]
	; wave barrier
	s_cbranch_scc1 .LBB87_2
	s_branch .LBB87_4
.LBB87_3:
	v_mov_b32_e32 v65, 0
	v_pk_mov_b32 v[2:3], 0, 0
	v_pk_mov_b32 v[62:63], 0, 0
	v_mov_b32_e32 v29, v65
	v_mov_b32_e32 v57, v65
	;; [unrolled: 1-line block ×13, first 2 shown]
	v_pk_mov_b32 v[60:61], v[64:65], v[64:65] op_sel:[0,1]
	v_pk_mov_b32 v[30:31], 0, 0
	v_pk_mov_b32 v[58:59], 0, 0
	;; [unrolled: 1-line block ×12, first 2 shown]
	v_mov_b32_e32 v17, v65
	v_pk_mov_b32 v[18:19], 0, 0
	v_mov_b32_e32 v13, v65
	v_pk_mov_b32 v[14:15], 0, 0
.LBB87_4:
	s_load_dwordx2 s[4:5], s[4:5], 0x0
	v_lshl_or_b32 v64, s8, 12, v64
	v_mov_b32_e32 v65, 0
	v_lshlrev_b64 v[64:65], 4, v[64:65]
	s_waitcnt lgkmcnt(0)
	v_mov_b32_e32 v66, s5
	v_add_co_u32_e32 v64, vcc, s4, v64
	v_addc_co_u32_e32 v65, vcc, v66, v65, vcc
	s_waitcnt vmcnt(2)
	global_store_dwordx4 v[64:65], v[60:63], off
	global_store_dwordx4 v[64:65], v[28:31], off offset:16
	global_store_dwordx4 v[64:65], v[56:59], off offset:32
	;; [unrolled: 1-line block ×11, first 2 shown]
	s_waitcnt vmcnt(12)
	global_store_dwordx4 v[64:65], v[20:23], off offset:192
	global_store_dwordx4 v[64:65], v[16:19], off offset:208
	;; [unrolled: 1-line block ×4, first 2 shown]
	s_endpgm
	.section	.rodata,"a",@progbits
	.p2align	6, 0x0
	.amdhsa_kernel _Z20warp_exchange_kernelILj256ELj16ELj32EN6common25StripedToBlockedShuffleOpEoEvPT3_j
		.amdhsa_group_segment_fixed_size 0
		.amdhsa_private_segment_fixed_size 528
		.amdhsa_kernarg_size 12
		.amdhsa_user_sgpr_count 8
		.amdhsa_user_sgpr_private_segment_buffer 1
		.amdhsa_user_sgpr_dispatch_ptr 0
		.amdhsa_user_sgpr_queue_ptr 0
		.amdhsa_user_sgpr_kernarg_segment_ptr 1
		.amdhsa_user_sgpr_dispatch_id 0
		.amdhsa_user_sgpr_flat_scratch_init 1
		.amdhsa_user_sgpr_kernarg_preload_length 0
		.amdhsa_user_sgpr_kernarg_preload_offset 0
		.amdhsa_user_sgpr_private_segment_size 0
		.amdhsa_uses_dynamic_stack 0
		.amdhsa_system_sgpr_private_segment_wavefront_offset 1
		.amdhsa_system_sgpr_workgroup_id_x 1
		.amdhsa_system_sgpr_workgroup_id_y 0
		.amdhsa_system_sgpr_workgroup_id_z 0
		.amdhsa_system_sgpr_workgroup_info 0
		.amdhsa_system_vgpr_workitem_id 0
		.amdhsa_next_free_vgpr 109
		.amdhsa_next_free_sgpr 10
		.amdhsa_accum_offset 112
		.amdhsa_reserve_vcc 1
		.amdhsa_reserve_flat_scratch 0
		.amdhsa_float_round_mode_32 0
		.amdhsa_float_round_mode_16_64 0
		.amdhsa_float_denorm_mode_32 3
		.amdhsa_float_denorm_mode_16_64 3
		.amdhsa_dx10_clamp 1
		.amdhsa_ieee_mode 1
		.amdhsa_fp16_overflow 0
		.amdhsa_tg_split 0
		.amdhsa_exception_fp_ieee_invalid_op 0
		.amdhsa_exception_fp_denorm_src 0
		.amdhsa_exception_fp_ieee_div_zero 0
		.amdhsa_exception_fp_ieee_overflow 0
		.amdhsa_exception_fp_ieee_underflow 0
		.amdhsa_exception_fp_ieee_inexact 0
		.amdhsa_exception_int_div_zero 0
	.end_amdhsa_kernel
	.section	.text._Z20warp_exchange_kernelILj256ELj16ELj32EN6common25StripedToBlockedShuffleOpEoEvPT3_j,"axG",@progbits,_Z20warp_exchange_kernelILj256ELj16ELj32EN6common25StripedToBlockedShuffleOpEoEvPT3_j,comdat
.Lfunc_end87:
	.size	_Z20warp_exchange_kernelILj256ELj16ELj32EN6common25StripedToBlockedShuffleOpEoEvPT3_j, .Lfunc_end87-_Z20warp_exchange_kernelILj256ELj16ELj32EN6common25StripedToBlockedShuffleOpEoEvPT3_j
                                        ; -- End function
	.section	.AMDGPU.csdata,"",@progbits
; Kernel info:
; codeLenInByte = 6712
; NumSgprs: 14
; NumVgprs: 109
; NumAgprs: 0
; TotalNumVgprs: 109
; ScratchSize: 528
; MemoryBound: 0
; FloatMode: 240
; IeeeMode: 1
; LDSByteSize: 0 bytes/workgroup (compile time only)
; SGPRBlocks: 1
; VGPRBlocks: 13
; NumSGPRsForWavesPerEU: 14
; NumVGPRsForWavesPerEU: 109
; AccumOffset: 112
; Occupancy: 4
; WaveLimiterHint : 1
; COMPUTE_PGM_RSRC2:SCRATCH_EN: 1
; COMPUTE_PGM_RSRC2:USER_SGPR: 8
; COMPUTE_PGM_RSRC2:TRAP_HANDLER: 0
; COMPUTE_PGM_RSRC2:TGID_X_EN: 1
; COMPUTE_PGM_RSRC2:TGID_Y_EN: 0
; COMPUTE_PGM_RSRC2:TGID_Z_EN: 0
; COMPUTE_PGM_RSRC2:TIDIG_COMP_CNT: 0
; COMPUTE_PGM_RSRC3_GFX90A:ACCUM_OFFSET: 27
; COMPUTE_PGM_RSRC3_GFX90A:TG_SPLIT: 0
	.section	.text._Z20warp_exchange_kernelILj256ELj1ELj16E18ScatterToStripedOpoEvPT3_j,"axG",@progbits,_Z20warp_exchange_kernelILj256ELj1ELj16E18ScatterToStripedOpoEvPT3_j,comdat
	.protected	_Z20warp_exchange_kernelILj256ELj1ELj16E18ScatterToStripedOpoEvPT3_j ; -- Begin function _Z20warp_exchange_kernelILj256ELj1ELj16E18ScatterToStripedOpoEvPT3_j
	.globl	_Z20warp_exchange_kernelILj256ELj1ELj16E18ScatterToStripedOpoEvPT3_j
	.p2align	8
	.type	_Z20warp_exchange_kernelILj256ELj1ELj16E18ScatterToStripedOpoEvPT3_j,@function
_Z20warp_exchange_kernelILj256ELj1ELj16E18ScatterToStripedOpoEvPT3_j: ; @_Z20warp_exchange_kernelILj256ELj1ELj16E18ScatterToStripedOpoEvPT3_j
; %bb.0:
	s_load_dword s0, s[4:5], 0x8
	v_mov_b32_e32 v1, 0
	s_waitcnt lgkmcnt(0)
	s_cmp_eq_u32 s0, 0
	s_cbranch_scc1 .LBB88_3
; %bb.1:
	v_mbcnt_lo_u32_b32 v6, -1, 0
	v_not_b32_e32 v2, v0
	v_lshlrev_b32_e32 v3, 4, v0
	v_mbcnt_hi_u32_b32 v6, -1, v6
	v_and_b32_e32 v2, 15, v2
	v_and_b32_e32 v3, 0xf00, v3
	;; [unrolled: 1-line block ×3, first 2 shown]
	v_pk_mov_b32 v[4:5], 0, 0
	v_lshl_or_b32 v6, v2, 4, v3
	v_lshl_or_b32 v7, v7, 4, v3
	v_pk_mov_b32 v[2:3], v[0:1], v[0:1] op_sel:[0,1]
.LBB88_2:                               ; =>This Inner Loop Header: Depth=1
	s_waitcnt lgkmcnt(0)
	ds_write_b128 v6, v[2:5]
	; wave barrier
	ds_read_b128 v[2:5], v7
	s_add_i32 s0, s0, -1
	s_cmp_lg_u32 s0, 0
	; wave barrier
	s_cbranch_scc1 .LBB88_2
	s_branch .LBB88_4
.LBB88_3:
	v_pk_mov_b32 v[4:5], 0, 0
	v_pk_mov_b32 v[2:3], v[0:1], v[0:1] op_sel:[0,1]
.LBB88_4:
	s_load_dwordx2 s[0:1], s[4:5], 0x0
	v_lshl_or_b32 v0, s6, 8, v0
	v_mov_b32_e32 v1, 0
	v_lshlrev_b64 v[0:1], 4, v[0:1]
	s_waitcnt lgkmcnt(0)
	v_mov_b32_e32 v6, s1
	v_add_co_u32_e32 v0, vcc, s0, v0
	v_addc_co_u32_e32 v1, vcc, v6, v1, vcc
	global_store_dwordx4 v[0:1], v[2:5], off
	s_endpgm
	.section	.rodata,"a",@progbits
	.p2align	6, 0x0
	.amdhsa_kernel _Z20warp_exchange_kernelILj256ELj1ELj16E18ScatterToStripedOpoEvPT3_j
		.amdhsa_group_segment_fixed_size 4096
		.amdhsa_private_segment_fixed_size 0
		.amdhsa_kernarg_size 12
		.amdhsa_user_sgpr_count 6
		.amdhsa_user_sgpr_private_segment_buffer 1
		.amdhsa_user_sgpr_dispatch_ptr 0
		.amdhsa_user_sgpr_queue_ptr 0
		.amdhsa_user_sgpr_kernarg_segment_ptr 1
		.amdhsa_user_sgpr_dispatch_id 0
		.amdhsa_user_sgpr_flat_scratch_init 0
		.amdhsa_user_sgpr_kernarg_preload_length 0
		.amdhsa_user_sgpr_kernarg_preload_offset 0
		.amdhsa_user_sgpr_private_segment_size 0
		.amdhsa_uses_dynamic_stack 0
		.amdhsa_system_sgpr_private_segment_wavefront_offset 0
		.amdhsa_system_sgpr_workgroup_id_x 1
		.amdhsa_system_sgpr_workgroup_id_y 0
		.amdhsa_system_sgpr_workgroup_id_z 0
		.amdhsa_system_sgpr_workgroup_info 0
		.amdhsa_system_vgpr_workitem_id 0
		.amdhsa_next_free_vgpr 8
		.amdhsa_next_free_sgpr 7
		.amdhsa_accum_offset 8
		.amdhsa_reserve_vcc 1
		.amdhsa_reserve_flat_scratch 0
		.amdhsa_float_round_mode_32 0
		.amdhsa_float_round_mode_16_64 0
		.amdhsa_float_denorm_mode_32 3
		.amdhsa_float_denorm_mode_16_64 3
		.amdhsa_dx10_clamp 1
		.amdhsa_ieee_mode 1
		.amdhsa_fp16_overflow 0
		.amdhsa_tg_split 0
		.amdhsa_exception_fp_ieee_invalid_op 0
		.amdhsa_exception_fp_denorm_src 0
		.amdhsa_exception_fp_ieee_div_zero 0
		.amdhsa_exception_fp_ieee_overflow 0
		.amdhsa_exception_fp_ieee_underflow 0
		.amdhsa_exception_fp_ieee_inexact 0
		.amdhsa_exception_int_div_zero 0
	.end_amdhsa_kernel
	.section	.text._Z20warp_exchange_kernelILj256ELj1ELj16E18ScatterToStripedOpoEvPT3_j,"axG",@progbits,_Z20warp_exchange_kernelILj256ELj1ELj16E18ScatterToStripedOpoEvPT3_j,comdat
.Lfunc_end88:
	.size	_Z20warp_exchange_kernelILj256ELj1ELj16E18ScatterToStripedOpoEvPT3_j, .Lfunc_end88-_Z20warp_exchange_kernelILj256ELj1ELj16E18ScatterToStripedOpoEvPT3_j
                                        ; -- End function
	.section	.AMDGPU.csdata,"",@progbits
; Kernel info:
; codeLenInByte = 204
; NumSgprs: 11
; NumVgprs: 8
; NumAgprs: 0
; TotalNumVgprs: 8
; ScratchSize: 0
; MemoryBound: 0
; FloatMode: 240
; IeeeMode: 1
; LDSByteSize: 4096 bytes/workgroup (compile time only)
; SGPRBlocks: 1
; VGPRBlocks: 0
; NumSGPRsForWavesPerEU: 11
; NumVGPRsForWavesPerEU: 8
; AccumOffset: 8
; Occupancy: 8
; WaveLimiterHint : 0
; COMPUTE_PGM_RSRC2:SCRATCH_EN: 0
; COMPUTE_PGM_RSRC2:USER_SGPR: 6
; COMPUTE_PGM_RSRC2:TRAP_HANDLER: 0
; COMPUTE_PGM_RSRC2:TGID_X_EN: 1
; COMPUTE_PGM_RSRC2:TGID_Y_EN: 0
; COMPUTE_PGM_RSRC2:TGID_Z_EN: 0
; COMPUTE_PGM_RSRC2:TIDIG_COMP_CNT: 0
; COMPUTE_PGM_RSRC3_GFX90A:ACCUM_OFFSET: 1
; COMPUTE_PGM_RSRC3_GFX90A:TG_SPLIT: 0
	.section	.text._Z20warp_exchange_kernelILj256ELj1ELj32E18ScatterToStripedOpoEvPT3_j,"axG",@progbits,_Z20warp_exchange_kernelILj256ELj1ELj32E18ScatterToStripedOpoEvPT3_j,comdat
	.protected	_Z20warp_exchange_kernelILj256ELj1ELj32E18ScatterToStripedOpoEvPT3_j ; -- Begin function _Z20warp_exchange_kernelILj256ELj1ELj32E18ScatterToStripedOpoEvPT3_j
	.globl	_Z20warp_exchange_kernelILj256ELj1ELj32E18ScatterToStripedOpoEvPT3_j
	.p2align	8
	.type	_Z20warp_exchange_kernelILj256ELj1ELj32E18ScatterToStripedOpoEvPT3_j,@function
_Z20warp_exchange_kernelILj256ELj1ELj32E18ScatterToStripedOpoEvPT3_j: ; @_Z20warp_exchange_kernelILj256ELj1ELj32E18ScatterToStripedOpoEvPT3_j
; %bb.0:
	s_load_dword s0, s[4:5], 0x8
	v_mov_b32_e32 v1, 0
	s_waitcnt lgkmcnt(0)
	s_cmp_eq_u32 s0, 0
	s_cbranch_scc1 .LBB89_3
; %bb.1:
	v_mbcnt_lo_u32_b32 v6, -1, 0
	v_not_b32_e32 v2, v0
	v_lshlrev_b32_e32 v3, 4, v0
	v_mbcnt_hi_u32_b32 v6, -1, v6
	v_and_b32_e32 v2, 31, v2
	v_and_b32_e32 v3, 0xe00, v3
	;; [unrolled: 1-line block ×3, first 2 shown]
	v_pk_mov_b32 v[4:5], 0, 0
	v_lshl_or_b32 v6, v2, 4, v3
	v_lshl_or_b32 v7, v7, 4, v3
	v_pk_mov_b32 v[2:3], v[0:1], v[0:1] op_sel:[0,1]
.LBB89_2:                               ; =>This Inner Loop Header: Depth=1
	s_waitcnt lgkmcnt(0)
	ds_write_b128 v6, v[2:5]
	; wave barrier
	ds_read_b128 v[2:5], v7
	s_add_i32 s0, s0, -1
	s_cmp_lg_u32 s0, 0
	; wave barrier
	s_cbranch_scc1 .LBB89_2
	s_branch .LBB89_4
.LBB89_3:
	v_pk_mov_b32 v[4:5], 0, 0
	v_pk_mov_b32 v[2:3], v[0:1], v[0:1] op_sel:[0,1]
.LBB89_4:
	s_load_dwordx2 s[0:1], s[4:5], 0x0
	v_lshl_or_b32 v0, s6, 8, v0
	v_mov_b32_e32 v1, 0
	v_lshlrev_b64 v[0:1], 4, v[0:1]
	s_waitcnt lgkmcnt(0)
	v_mov_b32_e32 v6, s1
	v_add_co_u32_e32 v0, vcc, s0, v0
	v_addc_co_u32_e32 v1, vcc, v6, v1, vcc
	global_store_dwordx4 v[0:1], v[2:5], off
	s_endpgm
	.section	.rodata,"a",@progbits
	.p2align	6, 0x0
	.amdhsa_kernel _Z20warp_exchange_kernelILj256ELj1ELj32E18ScatterToStripedOpoEvPT3_j
		.amdhsa_group_segment_fixed_size 4096
		.amdhsa_private_segment_fixed_size 0
		.amdhsa_kernarg_size 12
		.amdhsa_user_sgpr_count 6
		.amdhsa_user_sgpr_private_segment_buffer 1
		.amdhsa_user_sgpr_dispatch_ptr 0
		.amdhsa_user_sgpr_queue_ptr 0
		.amdhsa_user_sgpr_kernarg_segment_ptr 1
		.amdhsa_user_sgpr_dispatch_id 0
		.amdhsa_user_sgpr_flat_scratch_init 0
		.amdhsa_user_sgpr_kernarg_preload_length 0
		.amdhsa_user_sgpr_kernarg_preload_offset 0
		.amdhsa_user_sgpr_private_segment_size 0
		.amdhsa_uses_dynamic_stack 0
		.amdhsa_system_sgpr_private_segment_wavefront_offset 0
		.amdhsa_system_sgpr_workgroup_id_x 1
		.amdhsa_system_sgpr_workgroup_id_y 0
		.amdhsa_system_sgpr_workgroup_id_z 0
		.amdhsa_system_sgpr_workgroup_info 0
		.amdhsa_system_vgpr_workitem_id 0
		.amdhsa_next_free_vgpr 8
		.amdhsa_next_free_sgpr 7
		.amdhsa_accum_offset 8
		.amdhsa_reserve_vcc 1
		.amdhsa_reserve_flat_scratch 0
		.amdhsa_float_round_mode_32 0
		.amdhsa_float_round_mode_16_64 0
		.amdhsa_float_denorm_mode_32 3
		.amdhsa_float_denorm_mode_16_64 3
		.amdhsa_dx10_clamp 1
		.amdhsa_ieee_mode 1
		.amdhsa_fp16_overflow 0
		.amdhsa_tg_split 0
		.amdhsa_exception_fp_ieee_invalid_op 0
		.amdhsa_exception_fp_denorm_src 0
		.amdhsa_exception_fp_ieee_div_zero 0
		.amdhsa_exception_fp_ieee_overflow 0
		.amdhsa_exception_fp_ieee_underflow 0
		.amdhsa_exception_fp_ieee_inexact 0
		.amdhsa_exception_int_div_zero 0
	.end_amdhsa_kernel
	.section	.text._Z20warp_exchange_kernelILj256ELj1ELj32E18ScatterToStripedOpoEvPT3_j,"axG",@progbits,_Z20warp_exchange_kernelILj256ELj1ELj32E18ScatterToStripedOpoEvPT3_j,comdat
.Lfunc_end89:
	.size	_Z20warp_exchange_kernelILj256ELj1ELj32E18ScatterToStripedOpoEvPT3_j, .Lfunc_end89-_Z20warp_exchange_kernelILj256ELj1ELj32E18ScatterToStripedOpoEvPT3_j
                                        ; -- End function
	.section	.AMDGPU.csdata,"",@progbits
; Kernel info:
; codeLenInByte = 204
; NumSgprs: 11
; NumVgprs: 8
; NumAgprs: 0
; TotalNumVgprs: 8
; ScratchSize: 0
; MemoryBound: 0
; FloatMode: 240
; IeeeMode: 1
; LDSByteSize: 4096 bytes/workgroup (compile time only)
; SGPRBlocks: 1
; VGPRBlocks: 0
; NumSGPRsForWavesPerEU: 11
; NumVGPRsForWavesPerEU: 8
; AccumOffset: 8
; Occupancy: 8
; WaveLimiterHint : 0
; COMPUTE_PGM_RSRC2:SCRATCH_EN: 0
; COMPUTE_PGM_RSRC2:USER_SGPR: 6
; COMPUTE_PGM_RSRC2:TRAP_HANDLER: 0
; COMPUTE_PGM_RSRC2:TGID_X_EN: 1
; COMPUTE_PGM_RSRC2:TGID_Y_EN: 0
; COMPUTE_PGM_RSRC2:TGID_Z_EN: 0
; COMPUTE_PGM_RSRC2:TIDIG_COMP_CNT: 0
; COMPUTE_PGM_RSRC3_GFX90A:ACCUM_OFFSET: 1
; COMPUTE_PGM_RSRC3_GFX90A:TG_SPLIT: 0
	.section	.text._Z20warp_exchange_kernelILj256ELj4ELj16E18ScatterToStripedOpoEvPT3_j,"axG",@progbits,_Z20warp_exchange_kernelILj256ELj4ELj16E18ScatterToStripedOpoEvPT3_j,comdat
	.protected	_Z20warp_exchange_kernelILj256ELj4ELj16E18ScatterToStripedOpoEvPT3_j ; -- Begin function _Z20warp_exchange_kernelILj256ELj4ELj16E18ScatterToStripedOpoEvPT3_j
	.globl	_Z20warp_exchange_kernelILj256ELj4ELj16E18ScatterToStripedOpoEvPT3_j
	.p2align	8
	.type	_Z20warp_exchange_kernelILj256ELj4ELj16E18ScatterToStripedOpoEvPT3_j,@function
_Z20warp_exchange_kernelILj256ELj4ELj16E18ScatterToStripedOpoEvPT3_j: ; @_Z20warp_exchange_kernelILj256ELj4ELj16E18ScatterToStripedOpoEvPT3_j
; %bb.0:
	s_load_dword s0, s[4:5], 0x8
	v_lshlrev_b32_e32 v18, 2, v0
	v_or_b32_e32 v10, 1, v18
	v_or_b32_e32 v6, 2, v18
	;; [unrolled: 1-line block ×3, first 2 shown]
	s_waitcnt lgkmcnt(0)
	s_cmp_eq_u32 s0, 0
	s_cbranch_scc1 .LBB90_3
; %bb.1:
	v_lshlrev_b32_e32 v0, 6, v0
	v_and_b32_e32 v1, 60, v18
	v_and_b32_e32 v9, 0x3c00, v0
	v_mbcnt_lo_u32_b32 v0, -1, 0
	v_mov_b32_e32 v3, 0
	v_xor_b32_e32 v8, 60, v1
	v_mbcnt_hi_u32_b32 v12, -1, v0
	v_pk_mov_b32 v[4:5], 0, 0
	v_mov_b32_e32 v19, v3
	v_lshl_or_b32 v0, v8, 4, v9
	v_and_b32_e32 v8, 15, v12
	v_pk_mov_b32 v[16:17], 0, 0
	v_mov_b32_e32 v7, v3
	v_mov_b32_e32 v11, v3
	v_lshl_or_b32 v1, v1, 4, v9
	v_lshl_or_b32 v20, v8, 4, v9
	v_pk_mov_b32 v[8:9], v[4:5], v[4:5] op_sel:[0,1]
	v_pk_mov_b32 v[12:13], v[4:5], v[4:5] op_sel:[0,1]
	;; [unrolled: 1-line block ×3, first 2 shown]
.LBB90_2:                               ; =>This Inner Loop Header: Depth=1
	s_waitcnt lgkmcnt(3)
	ds_write_b128 v0, v[14:17]
	s_waitcnt lgkmcnt(3)
	ds_write_b128 v1, v[10:13] offset:16
	s_waitcnt lgkmcnt(3)
	ds_write_b128 v0, v[6:9] offset:32
	;; [unrolled: 2-line block ×3, first 2 shown]
	; wave barrier
	ds_read_b128 v[14:17], v20
	ds_read_b128 v[10:13], v20 offset:256
	ds_read_b128 v[6:9], v20 offset:512
	;; [unrolled: 1-line block ×3, first 2 shown]
	s_add_i32 s0, s0, -1
	s_cmp_lg_u32 s0, 0
	; wave barrier
	s_cbranch_scc1 .LBB90_2
	s_branch .LBB90_4
.LBB90_3:
	v_mov_b32_e32 v19, 0
	v_pk_mov_b32 v[16:17], 0, 0
	v_pk_mov_b32 v[4:5], 0, 0
	v_mov_b32_e32 v11, v19
	v_mov_b32_e32 v7, v19
	;; [unrolled: 1-line block ×3, first 2 shown]
	v_pk_mov_b32 v[14:15], v[18:19], v[18:19] op_sel:[0,1]
	v_pk_mov_b32 v[12:13], v[16:17], v[16:17] op_sel:[0,1]
	;; [unrolled: 1-line block ×3, first 2 shown]
.LBB90_4:
	s_load_dwordx2 s[0:1], s[4:5], 0x0
	v_lshl_or_b32 v0, s6, 10, v18
	v_mov_b32_e32 v1, 0
	v_lshlrev_b64 v[0:1], 4, v[0:1]
	s_waitcnt lgkmcnt(0)
	v_mov_b32_e32 v18, s1
	v_add_co_u32_e32 v0, vcc, s0, v0
	v_addc_co_u32_e32 v1, vcc, v18, v1, vcc
	global_store_dwordx4 v[0:1], v[14:17], off
	global_store_dwordx4 v[0:1], v[10:13], off offset:16
	global_store_dwordx4 v[0:1], v[6:9], off offset:32
	;; [unrolled: 1-line block ×3, first 2 shown]
	s_endpgm
	.section	.rodata,"a",@progbits
	.p2align	6, 0x0
	.amdhsa_kernel _Z20warp_exchange_kernelILj256ELj4ELj16E18ScatterToStripedOpoEvPT3_j
		.amdhsa_group_segment_fixed_size 16384
		.amdhsa_private_segment_fixed_size 0
		.amdhsa_kernarg_size 12
		.amdhsa_user_sgpr_count 6
		.amdhsa_user_sgpr_private_segment_buffer 1
		.amdhsa_user_sgpr_dispatch_ptr 0
		.amdhsa_user_sgpr_queue_ptr 0
		.amdhsa_user_sgpr_kernarg_segment_ptr 1
		.amdhsa_user_sgpr_dispatch_id 0
		.amdhsa_user_sgpr_flat_scratch_init 0
		.amdhsa_user_sgpr_kernarg_preload_length 0
		.amdhsa_user_sgpr_kernarg_preload_offset 0
		.amdhsa_user_sgpr_private_segment_size 0
		.amdhsa_uses_dynamic_stack 0
		.amdhsa_system_sgpr_private_segment_wavefront_offset 0
		.amdhsa_system_sgpr_workgroup_id_x 1
		.amdhsa_system_sgpr_workgroup_id_y 0
		.amdhsa_system_sgpr_workgroup_id_z 0
		.amdhsa_system_sgpr_workgroup_info 0
		.amdhsa_system_vgpr_workitem_id 0
		.amdhsa_next_free_vgpr 21
		.amdhsa_next_free_sgpr 7
		.amdhsa_accum_offset 24
		.amdhsa_reserve_vcc 1
		.amdhsa_reserve_flat_scratch 0
		.amdhsa_float_round_mode_32 0
		.amdhsa_float_round_mode_16_64 0
		.amdhsa_float_denorm_mode_32 3
		.amdhsa_float_denorm_mode_16_64 3
		.amdhsa_dx10_clamp 1
		.amdhsa_ieee_mode 1
		.amdhsa_fp16_overflow 0
		.amdhsa_tg_split 0
		.amdhsa_exception_fp_ieee_invalid_op 0
		.amdhsa_exception_fp_denorm_src 0
		.amdhsa_exception_fp_ieee_div_zero 0
		.amdhsa_exception_fp_ieee_overflow 0
		.amdhsa_exception_fp_ieee_underflow 0
		.amdhsa_exception_fp_ieee_inexact 0
		.amdhsa_exception_int_div_zero 0
	.end_amdhsa_kernel
	.section	.text._Z20warp_exchange_kernelILj256ELj4ELj16E18ScatterToStripedOpoEvPT3_j,"axG",@progbits,_Z20warp_exchange_kernelILj256ELj4ELj16E18ScatterToStripedOpoEvPT3_j,comdat
.Lfunc_end90:
	.size	_Z20warp_exchange_kernelILj256ELj4ELj16E18ScatterToStripedOpoEvPT3_j, .Lfunc_end90-_Z20warp_exchange_kernelILj256ELj4ELj16E18ScatterToStripedOpoEvPT3_j
                                        ; -- End function
	.section	.AMDGPU.csdata,"",@progbits
; Kernel info:
; codeLenInByte = 388
; NumSgprs: 11
; NumVgprs: 21
; NumAgprs: 0
; TotalNumVgprs: 21
; ScratchSize: 0
; MemoryBound: 0
; FloatMode: 240
; IeeeMode: 1
; LDSByteSize: 16384 bytes/workgroup (compile time only)
; SGPRBlocks: 1
; VGPRBlocks: 2
; NumSGPRsForWavesPerEU: 11
; NumVGPRsForWavesPerEU: 21
; AccumOffset: 24
; Occupancy: 4
; WaveLimiterHint : 0
; COMPUTE_PGM_RSRC2:SCRATCH_EN: 0
; COMPUTE_PGM_RSRC2:USER_SGPR: 6
; COMPUTE_PGM_RSRC2:TRAP_HANDLER: 0
; COMPUTE_PGM_RSRC2:TGID_X_EN: 1
; COMPUTE_PGM_RSRC2:TGID_Y_EN: 0
; COMPUTE_PGM_RSRC2:TGID_Z_EN: 0
; COMPUTE_PGM_RSRC2:TIDIG_COMP_CNT: 0
; COMPUTE_PGM_RSRC3_GFX90A:ACCUM_OFFSET: 5
; COMPUTE_PGM_RSRC3_GFX90A:TG_SPLIT: 0
	.section	.text._Z20warp_exchange_kernelILj256ELj4ELj32E18ScatterToStripedOpoEvPT3_j,"axG",@progbits,_Z20warp_exchange_kernelILj256ELj4ELj32E18ScatterToStripedOpoEvPT3_j,comdat
	.protected	_Z20warp_exchange_kernelILj256ELj4ELj32E18ScatterToStripedOpoEvPT3_j ; -- Begin function _Z20warp_exchange_kernelILj256ELj4ELj32E18ScatterToStripedOpoEvPT3_j
	.globl	_Z20warp_exchange_kernelILj256ELj4ELj32E18ScatterToStripedOpoEvPT3_j
	.p2align	8
	.type	_Z20warp_exchange_kernelILj256ELj4ELj32E18ScatterToStripedOpoEvPT3_j,@function
_Z20warp_exchange_kernelILj256ELj4ELj32E18ScatterToStripedOpoEvPT3_j: ; @_Z20warp_exchange_kernelILj256ELj4ELj32E18ScatterToStripedOpoEvPT3_j
; %bb.0:
	s_load_dword s0, s[4:5], 0x8
	v_lshlrev_b32_e32 v18, 2, v0
	v_or_b32_e32 v10, 1, v18
	v_or_b32_e32 v6, 2, v18
	;; [unrolled: 1-line block ×3, first 2 shown]
	s_waitcnt lgkmcnt(0)
	s_cmp_eq_u32 s0, 0
	s_cbranch_scc1 .LBB91_3
; %bb.1:
	v_lshlrev_b32_e32 v0, 6, v0
	v_and_b32_e32 v1, 0x7c, v18
	v_and_b32_e32 v9, 0x3800, v0
	v_mbcnt_lo_u32_b32 v0, -1, 0
	v_mov_b32_e32 v3, 0
	v_xor_b32_e32 v8, 0x7c, v1
	v_mbcnt_hi_u32_b32 v12, -1, v0
	v_pk_mov_b32 v[4:5], 0, 0
	v_mov_b32_e32 v19, v3
	v_lshl_or_b32 v0, v8, 4, v9
	v_and_b32_e32 v8, 31, v12
	v_pk_mov_b32 v[16:17], 0, 0
	v_mov_b32_e32 v7, v3
	v_mov_b32_e32 v11, v3
	v_lshl_or_b32 v1, v1, 4, v9
	v_lshl_or_b32 v20, v8, 4, v9
	v_pk_mov_b32 v[8:9], v[4:5], v[4:5] op_sel:[0,1]
	v_pk_mov_b32 v[12:13], v[4:5], v[4:5] op_sel:[0,1]
	;; [unrolled: 1-line block ×3, first 2 shown]
.LBB91_2:                               ; =>This Inner Loop Header: Depth=1
	s_waitcnt lgkmcnt(3)
	ds_write_b128 v0, v[14:17]
	s_waitcnt lgkmcnt(3)
	ds_write_b128 v1, v[10:13] offset:16
	s_waitcnt lgkmcnt(3)
	ds_write_b128 v0, v[6:9] offset:32
	;; [unrolled: 2-line block ×3, first 2 shown]
	; wave barrier
	ds_read_b128 v[14:17], v20
	ds_read_b128 v[10:13], v20 offset:512
	ds_read_b128 v[6:9], v20 offset:1024
	;; [unrolled: 1-line block ×3, first 2 shown]
	s_add_i32 s0, s0, -1
	s_cmp_lg_u32 s0, 0
	; wave barrier
	s_cbranch_scc1 .LBB91_2
	s_branch .LBB91_4
.LBB91_3:
	v_mov_b32_e32 v19, 0
	v_pk_mov_b32 v[16:17], 0, 0
	v_pk_mov_b32 v[4:5], 0, 0
	v_mov_b32_e32 v11, v19
	v_mov_b32_e32 v7, v19
	;; [unrolled: 1-line block ×3, first 2 shown]
	v_pk_mov_b32 v[14:15], v[18:19], v[18:19] op_sel:[0,1]
	v_pk_mov_b32 v[12:13], v[16:17], v[16:17] op_sel:[0,1]
	;; [unrolled: 1-line block ×3, first 2 shown]
.LBB91_4:
	s_load_dwordx2 s[0:1], s[4:5], 0x0
	v_lshl_or_b32 v0, s6, 10, v18
	v_mov_b32_e32 v1, 0
	v_lshlrev_b64 v[0:1], 4, v[0:1]
	s_waitcnt lgkmcnt(0)
	v_mov_b32_e32 v18, s1
	v_add_co_u32_e32 v0, vcc, s0, v0
	v_addc_co_u32_e32 v1, vcc, v18, v1, vcc
	global_store_dwordx4 v[0:1], v[14:17], off
	global_store_dwordx4 v[0:1], v[10:13], off offset:16
	global_store_dwordx4 v[0:1], v[6:9], off offset:32
	;; [unrolled: 1-line block ×3, first 2 shown]
	s_endpgm
	.section	.rodata,"a",@progbits
	.p2align	6, 0x0
	.amdhsa_kernel _Z20warp_exchange_kernelILj256ELj4ELj32E18ScatterToStripedOpoEvPT3_j
		.amdhsa_group_segment_fixed_size 16384
		.amdhsa_private_segment_fixed_size 0
		.amdhsa_kernarg_size 12
		.amdhsa_user_sgpr_count 6
		.amdhsa_user_sgpr_private_segment_buffer 1
		.amdhsa_user_sgpr_dispatch_ptr 0
		.amdhsa_user_sgpr_queue_ptr 0
		.amdhsa_user_sgpr_kernarg_segment_ptr 1
		.amdhsa_user_sgpr_dispatch_id 0
		.amdhsa_user_sgpr_flat_scratch_init 0
		.amdhsa_user_sgpr_kernarg_preload_length 0
		.amdhsa_user_sgpr_kernarg_preload_offset 0
		.amdhsa_user_sgpr_private_segment_size 0
		.amdhsa_uses_dynamic_stack 0
		.amdhsa_system_sgpr_private_segment_wavefront_offset 0
		.amdhsa_system_sgpr_workgroup_id_x 1
		.amdhsa_system_sgpr_workgroup_id_y 0
		.amdhsa_system_sgpr_workgroup_id_z 0
		.amdhsa_system_sgpr_workgroup_info 0
		.amdhsa_system_vgpr_workitem_id 0
		.amdhsa_next_free_vgpr 21
		.amdhsa_next_free_sgpr 7
		.amdhsa_accum_offset 24
		.amdhsa_reserve_vcc 1
		.amdhsa_reserve_flat_scratch 0
		.amdhsa_float_round_mode_32 0
		.amdhsa_float_round_mode_16_64 0
		.amdhsa_float_denorm_mode_32 3
		.amdhsa_float_denorm_mode_16_64 3
		.amdhsa_dx10_clamp 1
		.amdhsa_ieee_mode 1
		.amdhsa_fp16_overflow 0
		.amdhsa_tg_split 0
		.amdhsa_exception_fp_ieee_invalid_op 0
		.amdhsa_exception_fp_denorm_src 0
		.amdhsa_exception_fp_ieee_div_zero 0
		.amdhsa_exception_fp_ieee_overflow 0
		.amdhsa_exception_fp_ieee_underflow 0
		.amdhsa_exception_fp_ieee_inexact 0
		.amdhsa_exception_int_div_zero 0
	.end_amdhsa_kernel
	.section	.text._Z20warp_exchange_kernelILj256ELj4ELj32E18ScatterToStripedOpoEvPT3_j,"axG",@progbits,_Z20warp_exchange_kernelILj256ELj4ELj32E18ScatterToStripedOpoEvPT3_j,comdat
.Lfunc_end91:
	.size	_Z20warp_exchange_kernelILj256ELj4ELj32E18ScatterToStripedOpoEvPT3_j, .Lfunc_end91-_Z20warp_exchange_kernelILj256ELj4ELj32E18ScatterToStripedOpoEvPT3_j
                                        ; -- End function
	.section	.AMDGPU.csdata,"",@progbits
; Kernel info:
; codeLenInByte = 396
; NumSgprs: 11
; NumVgprs: 21
; NumAgprs: 0
; TotalNumVgprs: 21
; ScratchSize: 0
; MemoryBound: 0
; FloatMode: 240
; IeeeMode: 1
; LDSByteSize: 16384 bytes/workgroup (compile time only)
; SGPRBlocks: 1
; VGPRBlocks: 2
; NumSGPRsForWavesPerEU: 11
; NumVGPRsForWavesPerEU: 21
; AccumOffset: 24
; Occupancy: 4
; WaveLimiterHint : 0
; COMPUTE_PGM_RSRC2:SCRATCH_EN: 0
; COMPUTE_PGM_RSRC2:USER_SGPR: 6
; COMPUTE_PGM_RSRC2:TRAP_HANDLER: 0
; COMPUTE_PGM_RSRC2:TGID_X_EN: 1
; COMPUTE_PGM_RSRC2:TGID_Y_EN: 0
; COMPUTE_PGM_RSRC2:TGID_Z_EN: 0
; COMPUTE_PGM_RSRC2:TIDIG_COMP_CNT: 0
; COMPUTE_PGM_RSRC3_GFX90A:ACCUM_OFFSET: 5
; COMPUTE_PGM_RSRC3_GFX90A:TG_SPLIT: 0
	.section	.text._Z20warp_exchange_kernelILj256ELj16ELj16E18ScatterToStripedOpoEvPT3_j,"axG",@progbits,_Z20warp_exchange_kernelILj256ELj16ELj16E18ScatterToStripedOpoEvPT3_j,comdat
	.protected	_Z20warp_exchange_kernelILj256ELj16ELj16E18ScatterToStripedOpoEvPT3_j ; -- Begin function _Z20warp_exchange_kernelILj256ELj16ELj16E18ScatterToStripedOpoEvPT3_j
	.globl	_Z20warp_exchange_kernelILj256ELj16ELj16E18ScatterToStripedOpoEvPT3_j
	.p2align	8
	.type	_Z20warp_exchange_kernelILj256ELj16ELj16E18ScatterToStripedOpoEvPT3_j,@function
_Z20warp_exchange_kernelILj256ELj16ELj16E18ScatterToStripedOpoEvPT3_j: ; @_Z20warp_exchange_kernelILj256ELj16ELj16E18ScatterToStripedOpoEvPT3_j
; %bb.0:
	s_load_dword s0, s[4:5], 0x8
	v_lshlrev_b32_e32 v66, 4, v0
	v_or_b32_e32 v58, 1, v66
	v_or_b32_e32 v54, 2, v66
	;; [unrolled: 1-line block ×14, first 2 shown]
	s_waitcnt lgkmcnt(0)
	s_cmp_eq_u32 s0, 0
	v_or_b32_e32 v2, 15, v66
	s_cbranch_scc1 .LBB92_3
; %bb.1:
	v_lshlrev_b32_e32 v0, 8, v0
	v_and_b32_e32 v5, 0xf000, v0
	v_mbcnt_lo_u32_b32 v0, -1, 0
	v_mov_b32_e32 v3, 0
	v_and_b32_e32 v4, 0xf0, v66
	v_mbcnt_hi_u32_b32 v0, -1, v0
	v_pk_mov_b32 v[60:61], 0, 0
	v_mov_b32_e32 v67, v3
	v_xor_b32_e32 v1, 0xf0, v4
	v_and_b32_e32 v0, 15, v0
	v_pk_mov_b32 v[64:65], 0, 0
	v_mov_b32_e32 v7, v3
	v_mov_b32_e32 v11, v3
	;; [unrolled: 1-line block ×14, first 2 shown]
	v_lshl_or_b32 v0, v0, 4, v5
	v_lshl_or_b32 v1, v1, 4, v5
	;; [unrolled: 1-line block ×3, first 2 shown]
	v_pk_mov_b32 v[62:63], v[66:67], v[66:67] op_sel:[0,1]
	v_pk_mov_b32 v[56:57], v[60:61], v[60:61] op_sel:[0,1]
	v_pk_mov_b32 v[52:53], v[60:61], v[60:61] op_sel:[0,1]
	v_pk_mov_b32 v[48:49], v[60:61], v[60:61] op_sel:[0,1]
	v_pk_mov_b32 v[44:45], v[60:61], v[60:61] op_sel:[0,1]
	v_pk_mov_b32 v[40:41], v[60:61], v[60:61] op_sel:[0,1]
	v_pk_mov_b32 v[36:37], v[60:61], v[60:61] op_sel:[0,1]
	v_pk_mov_b32 v[32:33], v[60:61], v[60:61] op_sel:[0,1]
	v_pk_mov_b32 v[28:29], v[60:61], v[60:61] op_sel:[0,1]
	v_pk_mov_b32 v[24:25], v[60:61], v[60:61] op_sel:[0,1]
	v_pk_mov_b32 v[20:21], v[60:61], v[60:61] op_sel:[0,1]
	v_pk_mov_b32 v[16:17], v[60:61], v[60:61] op_sel:[0,1]
	v_pk_mov_b32 v[12:13], v[60:61], v[60:61] op_sel:[0,1]
	v_pk_mov_b32 v[8:9], v[60:61], v[60:61] op_sel:[0,1]
	v_pk_mov_b32 v[4:5], v[60:61], v[60:61] op_sel:[0,1]
.LBB92_2:                               ; =>This Inner Loop Header: Depth=1
	s_waitcnt lgkmcnt(14)
	ds_write_b128 v1, v[62:65]
	ds_write_b128 v68, v[58:61] offset:16
	s_waitcnt lgkmcnt(14)
	ds_write_b128 v1, v[54:57] offset:32
	ds_write_b128 v68, v[50:53] offset:48
	s_waitcnt lgkmcnt(14)
	ds_write_b128 v1, v[46:49] offset:64
	;; [unrolled: 3-line block ×7, first 2 shown]
	ds_write_b128 v68, v[2:5] offset:240
	; wave barrier
	ds_read_b128 v[62:65], v0
	ds_read_b128 v[58:61], v0 offset:256
	ds_read_b128 v[54:57], v0 offset:512
	;; [unrolled: 1-line block ×15, first 2 shown]
	s_add_i32 s0, s0, -1
	s_cmp_lg_u32 s0, 0
	; wave barrier
	s_cbranch_scc1 .LBB92_2
	s_branch .LBB92_4
.LBB92_3:
	v_mov_b32_e32 v67, 0
	v_pk_mov_b32 v[8:9], 0, 0
	v_pk_mov_b32 v[4:5], 0, 0
	v_mov_b32_e32 v59, v67
	v_mov_b32_e32 v55, v67
	;; [unrolled: 1-line block ×15, first 2 shown]
	v_pk_mov_b32 v[12:13], v[8:9], v[8:9] op_sel:[0,1]
	v_pk_mov_b32 v[16:17], v[8:9], v[8:9] op_sel:[0,1]
	;; [unrolled: 1-line block ×15, first 2 shown]
.LBB92_4:
	s_load_dwordx2 s[0:1], s[4:5], 0x0
	v_lshl_or_b32 v0, s6, 12, v66
	v_mov_b32_e32 v1, 0
	v_lshlrev_b64 v[0:1], 4, v[0:1]
	s_waitcnt lgkmcnt(0)
	v_mov_b32_e32 v66, s1
	v_add_co_u32_e32 v0, vcc, s0, v0
	v_addc_co_u32_e32 v1, vcc, v66, v1, vcc
	global_store_dwordx4 v[0:1], v[62:65], off
	global_store_dwordx4 v[0:1], v[58:61], off offset:16
	global_store_dwordx4 v[0:1], v[54:57], off offset:32
	global_store_dwordx4 v[0:1], v[50:53], off offset:48
	global_store_dwordx4 v[0:1], v[46:49], off offset:64
	global_store_dwordx4 v[0:1], v[42:45], off offset:80
	global_store_dwordx4 v[0:1], v[38:41], off offset:96
	global_store_dwordx4 v[0:1], v[34:37], off offset:112
	global_store_dwordx4 v[0:1], v[30:33], off offset:128
	global_store_dwordx4 v[0:1], v[26:29], off offset:144
	global_store_dwordx4 v[0:1], v[22:25], off offset:160
	global_store_dwordx4 v[0:1], v[18:21], off offset:176
	global_store_dwordx4 v[0:1], v[14:17], off offset:192
	global_store_dwordx4 v[0:1], v[10:13], off offset:208
	global_store_dwordx4 v[0:1], v[6:9], off offset:224
	global_store_dwordx4 v[0:1], v[2:5], off offset:240
	s_endpgm
	.section	.rodata,"a",@progbits
	.p2align	6, 0x0
	.amdhsa_kernel _Z20warp_exchange_kernelILj256ELj16ELj16E18ScatterToStripedOpoEvPT3_j
		.amdhsa_group_segment_fixed_size 65536
		.amdhsa_private_segment_fixed_size 0
		.amdhsa_kernarg_size 12
		.amdhsa_user_sgpr_count 6
		.amdhsa_user_sgpr_private_segment_buffer 1
		.amdhsa_user_sgpr_dispatch_ptr 0
		.amdhsa_user_sgpr_queue_ptr 0
		.amdhsa_user_sgpr_kernarg_segment_ptr 1
		.amdhsa_user_sgpr_dispatch_id 0
		.amdhsa_user_sgpr_flat_scratch_init 0
		.amdhsa_user_sgpr_kernarg_preload_length 0
		.amdhsa_user_sgpr_kernarg_preload_offset 0
		.amdhsa_user_sgpr_private_segment_size 0
		.amdhsa_uses_dynamic_stack 0
		.amdhsa_system_sgpr_private_segment_wavefront_offset 0
		.amdhsa_system_sgpr_workgroup_id_x 1
		.amdhsa_system_sgpr_workgroup_id_y 0
		.amdhsa_system_sgpr_workgroup_id_z 0
		.amdhsa_system_sgpr_workgroup_info 0
		.amdhsa_system_vgpr_workitem_id 0
		.amdhsa_next_free_vgpr 69
		.amdhsa_next_free_sgpr 7
		.amdhsa_accum_offset 72
		.amdhsa_reserve_vcc 1
		.amdhsa_reserve_flat_scratch 0
		.amdhsa_float_round_mode_32 0
		.amdhsa_float_round_mode_16_64 0
		.amdhsa_float_denorm_mode_32 3
		.amdhsa_float_denorm_mode_16_64 3
		.amdhsa_dx10_clamp 1
		.amdhsa_ieee_mode 1
		.amdhsa_fp16_overflow 0
		.amdhsa_tg_split 0
		.amdhsa_exception_fp_ieee_invalid_op 0
		.amdhsa_exception_fp_denorm_src 0
		.amdhsa_exception_fp_ieee_div_zero 0
		.amdhsa_exception_fp_ieee_overflow 0
		.amdhsa_exception_fp_ieee_underflow 0
		.amdhsa_exception_fp_ieee_inexact 0
		.amdhsa_exception_int_div_zero 0
	.end_amdhsa_kernel
	.section	.text._Z20warp_exchange_kernelILj256ELj16ELj16E18ScatterToStripedOpoEvPT3_j,"axG",@progbits,_Z20warp_exchange_kernelILj256ELj16ELj16E18ScatterToStripedOpoEvPT3_j,comdat
.Lfunc_end92:
	.size	_Z20warp_exchange_kernelILj256ELj16ELj16E18ScatterToStripedOpoEvPT3_j, .Lfunc_end92-_Z20warp_exchange_kernelILj256ELj16ELj16E18ScatterToStripedOpoEvPT3_j
                                        ; -- End function
	.section	.AMDGPU.csdata,"",@progbits
; Kernel info:
; codeLenInByte = 1036
; NumSgprs: 11
; NumVgprs: 69
; NumAgprs: 0
; TotalNumVgprs: 69
; ScratchSize: 0
; MemoryBound: 1
; FloatMode: 240
; IeeeMode: 1
; LDSByteSize: 65536 bytes/workgroup (compile time only)
; SGPRBlocks: 1
; VGPRBlocks: 8
; NumSGPRsForWavesPerEU: 11
; NumVGPRsForWavesPerEU: 69
; AccumOffset: 72
; Occupancy: 1
; WaveLimiterHint : 1
; COMPUTE_PGM_RSRC2:SCRATCH_EN: 0
; COMPUTE_PGM_RSRC2:USER_SGPR: 6
; COMPUTE_PGM_RSRC2:TRAP_HANDLER: 0
; COMPUTE_PGM_RSRC2:TGID_X_EN: 1
; COMPUTE_PGM_RSRC2:TGID_Y_EN: 0
; COMPUTE_PGM_RSRC2:TGID_Z_EN: 0
; COMPUTE_PGM_RSRC2:TIDIG_COMP_CNT: 0
; COMPUTE_PGM_RSRC3_GFX90A:ACCUM_OFFSET: 17
; COMPUTE_PGM_RSRC3_GFX90A:TG_SPLIT: 0
	.section	.text._Z20warp_exchange_kernelILj256ELj16ELj32E18ScatterToStripedOpoEvPT3_j,"axG",@progbits,_Z20warp_exchange_kernelILj256ELj16ELj32E18ScatterToStripedOpoEvPT3_j,comdat
	.protected	_Z20warp_exchange_kernelILj256ELj16ELj32E18ScatterToStripedOpoEvPT3_j ; -- Begin function _Z20warp_exchange_kernelILj256ELj16ELj32E18ScatterToStripedOpoEvPT3_j
	.globl	_Z20warp_exchange_kernelILj256ELj16ELj32E18ScatterToStripedOpoEvPT3_j
	.p2align	8
	.type	_Z20warp_exchange_kernelILj256ELj16ELj32E18ScatterToStripedOpoEvPT3_j,@function
_Z20warp_exchange_kernelILj256ELj16ELj32E18ScatterToStripedOpoEvPT3_j: ; @_Z20warp_exchange_kernelILj256ELj16ELj32E18ScatterToStripedOpoEvPT3_j
; %bb.0:
	s_load_dword s0, s[4:5], 0x8
	v_lshlrev_b32_e32 v66, 4, v0
	v_or_b32_e32 v58, 1, v66
	v_or_b32_e32 v54, 2, v66
	;; [unrolled: 1-line block ×14, first 2 shown]
	s_waitcnt lgkmcnt(0)
	s_cmp_eq_u32 s0, 0
	v_or_b32_e32 v2, 15, v66
	s_cbranch_scc1 .LBB93_3
; %bb.1:
	v_lshlrev_b32_e32 v0, 8, v0
	v_and_b32_e32 v5, 0xe000, v0
	v_mbcnt_lo_u32_b32 v0, -1, 0
	v_mov_b32_e32 v3, 0
	v_and_b32_e32 v4, 0x1f0, v66
	v_mbcnt_hi_u32_b32 v0, -1, v0
	v_pk_mov_b32 v[60:61], 0, 0
	v_mov_b32_e32 v67, v3
	v_xor_b32_e32 v1, 0x1f0, v4
	v_and_b32_e32 v0, 31, v0
	v_pk_mov_b32 v[64:65], 0, 0
	v_mov_b32_e32 v7, v3
	v_mov_b32_e32 v11, v3
	;; [unrolled: 1-line block ×14, first 2 shown]
	v_lshl_or_b32 v0, v0, 4, v5
	v_lshl_or_b32 v1, v1, 4, v5
	;; [unrolled: 1-line block ×3, first 2 shown]
	v_pk_mov_b32 v[62:63], v[66:67], v[66:67] op_sel:[0,1]
	v_pk_mov_b32 v[56:57], v[60:61], v[60:61] op_sel:[0,1]
	;; [unrolled: 1-line block ×15, first 2 shown]
.LBB93_2:                               ; =>This Inner Loop Header: Depth=1
	s_waitcnt lgkmcnt(14)
	ds_write_b128 v1, v[62:65]
	ds_write_b128 v68, v[58:61] offset:16
	s_waitcnt lgkmcnt(14)
	ds_write_b128 v1, v[54:57] offset:32
	ds_write_b128 v68, v[50:53] offset:48
	s_waitcnt lgkmcnt(14)
	ds_write_b128 v1, v[46:49] offset:64
	;; [unrolled: 3-line block ×7, first 2 shown]
	ds_write_b128 v68, v[2:5] offset:240
	; wave barrier
	ds_read_b128 v[62:65], v0
	ds_read_b128 v[58:61], v0 offset:512
	ds_read_b128 v[54:57], v0 offset:1024
	;; [unrolled: 1-line block ×15, first 2 shown]
	s_add_i32 s0, s0, -1
	s_cmp_lg_u32 s0, 0
	; wave barrier
	s_cbranch_scc1 .LBB93_2
	s_branch .LBB93_4
.LBB93_3:
	v_mov_b32_e32 v67, 0
	v_pk_mov_b32 v[8:9], 0, 0
	v_pk_mov_b32 v[4:5], 0, 0
	v_mov_b32_e32 v59, v67
	v_mov_b32_e32 v55, v67
	;; [unrolled: 1-line block ×15, first 2 shown]
	v_pk_mov_b32 v[12:13], v[8:9], v[8:9] op_sel:[0,1]
	v_pk_mov_b32 v[16:17], v[8:9], v[8:9] op_sel:[0,1]
	;; [unrolled: 1-line block ×15, first 2 shown]
.LBB93_4:
	s_load_dwordx2 s[0:1], s[4:5], 0x0
	v_lshl_or_b32 v0, s6, 12, v66
	v_mov_b32_e32 v1, 0
	v_lshlrev_b64 v[0:1], 4, v[0:1]
	s_waitcnt lgkmcnt(0)
	v_mov_b32_e32 v66, s1
	v_add_co_u32_e32 v0, vcc, s0, v0
	v_addc_co_u32_e32 v1, vcc, v66, v1, vcc
	global_store_dwordx4 v[0:1], v[62:65], off
	global_store_dwordx4 v[0:1], v[58:61], off offset:16
	global_store_dwordx4 v[0:1], v[54:57], off offset:32
	;; [unrolled: 1-line block ×15, first 2 shown]
	s_endpgm
	.section	.rodata,"a",@progbits
	.p2align	6, 0x0
	.amdhsa_kernel _Z20warp_exchange_kernelILj256ELj16ELj32E18ScatterToStripedOpoEvPT3_j
		.amdhsa_group_segment_fixed_size 65536
		.amdhsa_private_segment_fixed_size 0
		.amdhsa_kernarg_size 12
		.amdhsa_user_sgpr_count 6
		.amdhsa_user_sgpr_private_segment_buffer 1
		.amdhsa_user_sgpr_dispatch_ptr 0
		.amdhsa_user_sgpr_queue_ptr 0
		.amdhsa_user_sgpr_kernarg_segment_ptr 1
		.amdhsa_user_sgpr_dispatch_id 0
		.amdhsa_user_sgpr_flat_scratch_init 0
		.amdhsa_user_sgpr_kernarg_preload_length 0
		.amdhsa_user_sgpr_kernarg_preload_offset 0
		.amdhsa_user_sgpr_private_segment_size 0
		.amdhsa_uses_dynamic_stack 0
		.amdhsa_system_sgpr_private_segment_wavefront_offset 0
		.amdhsa_system_sgpr_workgroup_id_x 1
		.amdhsa_system_sgpr_workgroup_id_y 0
		.amdhsa_system_sgpr_workgroup_id_z 0
		.amdhsa_system_sgpr_workgroup_info 0
		.amdhsa_system_vgpr_workitem_id 0
		.amdhsa_next_free_vgpr 69
		.amdhsa_next_free_sgpr 7
		.amdhsa_accum_offset 72
		.amdhsa_reserve_vcc 1
		.amdhsa_reserve_flat_scratch 0
		.amdhsa_float_round_mode_32 0
		.amdhsa_float_round_mode_16_64 0
		.amdhsa_float_denorm_mode_32 3
		.amdhsa_float_denorm_mode_16_64 3
		.amdhsa_dx10_clamp 1
		.amdhsa_ieee_mode 1
		.amdhsa_fp16_overflow 0
		.amdhsa_tg_split 0
		.amdhsa_exception_fp_ieee_invalid_op 0
		.amdhsa_exception_fp_denorm_src 0
		.amdhsa_exception_fp_ieee_div_zero 0
		.amdhsa_exception_fp_ieee_overflow 0
		.amdhsa_exception_fp_ieee_underflow 0
		.amdhsa_exception_fp_ieee_inexact 0
		.amdhsa_exception_int_div_zero 0
	.end_amdhsa_kernel
	.section	.text._Z20warp_exchange_kernelILj256ELj16ELj32E18ScatterToStripedOpoEvPT3_j,"axG",@progbits,_Z20warp_exchange_kernelILj256ELj16ELj32E18ScatterToStripedOpoEvPT3_j,comdat
.Lfunc_end93:
	.size	_Z20warp_exchange_kernelILj256ELj16ELj32E18ScatterToStripedOpoEvPT3_j, .Lfunc_end93-_Z20warp_exchange_kernelILj256ELj16ELj32E18ScatterToStripedOpoEvPT3_j
                                        ; -- End function
	.section	.AMDGPU.csdata,"",@progbits
; Kernel info:
; codeLenInByte = 1036
; NumSgprs: 11
; NumVgprs: 69
; NumAgprs: 0
; TotalNumVgprs: 69
; ScratchSize: 0
; MemoryBound: 1
; FloatMode: 240
; IeeeMode: 1
; LDSByteSize: 65536 bytes/workgroup (compile time only)
; SGPRBlocks: 1
; VGPRBlocks: 8
; NumSGPRsForWavesPerEU: 11
; NumVGPRsForWavesPerEU: 69
; AccumOffset: 72
; Occupancy: 1
; WaveLimiterHint : 1
; COMPUTE_PGM_RSRC2:SCRATCH_EN: 0
; COMPUTE_PGM_RSRC2:USER_SGPR: 6
; COMPUTE_PGM_RSRC2:TRAP_HANDLER: 0
; COMPUTE_PGM_RSRC2:TGID_X_EN: 1
; COMPUTE_PGM_RSRC2:TGID_Y_EN: 0
; COMPUTE_PGM_RSRC2:TGID_Z_EN: 0
; COMPUTE_PGM_RSRC2:TIDIG_COMP_CNT: 0
; COMPUTE_PGM_RSRC3_GFX90A:ACCUM_OFFSET: 17
; COMPUTE_PGM_RSRC3_GFX90A:TG_SPLIT: 0
	.section	.text._Z20warp_exchange_kernelILj256ELj1ELj64EN6common18BlockedToStripedOpEiEvPT3_j,"axG",@progbits,_Z20warp_exchange_kernelILj256ELj1ELj64EN6common18BlockedToStripedOpEiEvPT3_j,comdat
	.protected	_Z20warp_exchange_kernelILj256ELj1ELj64EN6common18BlockedToStripedOpEiEvPT3_j ; -- Begin function _Z20warp_exchange_kernelILj256ELj1ELj64EN6common18BlockedToStripedOpEiEvPT3_j
	.globl	_Z20warp_exchange_kernelILj256ELj1ELj64EN6common18BlockedToStripedOpEiEvPT3_j
	.p2align	8
	.type	_Z20warp_exchange_kernelILj256ELj1ELj64EN6common18BlockedToStripedOpEiEvPT3_j,@function
_Z20warp_exchange_kernelILj256ELj1ELj64EN6common18BlockedToStripedOpEiEvPT3_j: ; @_Z20warp_exchange_kernelILj256ELj1ELj64EN6common18BlockedToStripedOpEiEvPT3_j
; %bb.0:
	s_load_dword s0, s[4:5], 0x8
	s_waitcnt lgkmcnt(0)
	s_cmp_eq_u32 s0, 0
	s_cbranch_scc1 .LBB94_3
; %bb.1:
	v_lshlrev_b32_e32 v1, 2, v0
	v_mbcnt_lo_u32_b32 v2, -1, 0
	v_and_b32_e32 v1, 0x300, v1
	v_mbcnt_hi_u32_b32 v2, -1, v2
	v_lshl_add_u32 v2, v2, 2, v1
	v_mov_b32_e32 v1, v0
.LBB94_2:                               ; =>This Inner Loop Header: Depth=1
	s_waitcnt lgkmcnt(0)
	ds_write_b32 v2, v1
	; wave barrier
	ds_read_b32 v1, v2
	s_add_i32 s0, s0, -1
	s_cmp_lg_u32 s0, 0
	; wave barrier
	s_cbranch_scc1 .LBB94_2
	s_branch .LBB94_4
.LBB94_3:
	v_mov_b32_e32 v1, v0
.LBB94_4:
	s_load_dwordx2 s[0:1], s[4:5], 0x0
	v_lshl_or_b32 v2, s6, 8, v0
	v_mov_b32_e32 v3, 0
	v_lshlrev_b64 v[2:3], 2, v[2:3]
	s_waitcnt lgkmcnt(0)
	v_mov_b32_e32 v0, s1
	v_add_co_u32_e32 v2, vcc, s0, v2
	v_addc_co_u32_e32 v3, vcc, v0, v3, vcc
	global_store_dword v[2:3], v1, off
	s_endpgm
	.section	.rodata,"a",@progbits
	.p2align	6, 0x0
	.amdhsa_kernel _Z20warp_exchange_kernelILj256ELj1ELj64EN6common18BlockedToStripedOpEiEvPT3_j
		.amdhsa_group_segment_fixed_size 1024
		.amdhsa_private_segment_fixed_size 0
		.amdhsa_kernarg_size 12
		.amdhsa_user_sgpr_count 6
		.amdhsa_user_sgpr_private_segment_buffer 1
		.amdhsa_user_sgpr_dispatch_ptr 0
		.amdhsa_user_sgpr_queue_ptr 0
		.amdhsa_user_sgpr_kernarg_segment_ptr 1
		.amdhsa_user_sgpr_dispatch_id 0
		.amdhsa_user_sgpr_flat_scratch_init 0
		.amdhsa_user_sgpr_kernarg_preload_length 0
		.amdhsa_user_sgpr_kernarg_preload_offset 0
		.amdhsa_user_sgpr_private_segment_size 0
		.amdhsa_uses_dynamic_stack 0
		.amdhsa_system_sgpr_private_segment_wavefront_offset 0
		.amdhsa_system_sgpr_workgroup_id_x 1
		.amdhsa_system_sgpr_workgroup_id_y 0
		.amdhsa_system_sgpr_workgroup_id_z 0
		.amdhsa_system_sgpr_workgroup_info 0
		.amdhsa_system_vgpr_workitem_id 0
		.amdhsa_next_free_vgpr 4
		.amdhsa_next_free_sgpr 7
		.amdhsa_accum_offset 4
		.amdhsa_reserve_vcc 1
		.amdhsa_reserve_flat_scratch 0
		.amdhsa_float_round_mode_32 0
		.amdhsa_float_round_mode_16_64 0
		.amdhsa_float_denorm_mode_32 3
		.amdhsa_float_denorm_mode_16_64 3
		.amdhsa_dx10_clamp 1
		.amdhsa_ieee_mode 1
		.amdhsa_fp16_overflow 0
		.amdhsa_tg_split 0
		.amdhsa_exception_fp_ieee_invalid_op 0
		.amdhsa_exception_fp_denorm_src 0
		.amdhsa_exception_fp_ieee_div_zero 0
		.amdhsa_exception_fp_ieee_overflow 0
		.amdhsa_exception_fp_ieee_underflow 0
		.amdhsa_exception_fp_ieee_inexact 0
		.amdhsa_exception_int_div_zero 0
	.end_amdhsa_kernel
	.section	.text._Z20warp_exchange_kernelILj256ELj1ELj64EN6common18BlockedToStripedOpEiEvPT3_j,"axG",@progbits,_Z20warp_exchange_kernelILj256ELj1ELj64EN6common18BlockedToStripedOpEiEvPT3_j,comdat
.Lfunc_end94:
	.size	_Z20warp_exchange_kernelILj256ELj1ELj64EN6common18BlockedToStripedOpEiEvPT3_j, .Lfunc_end94-_Z20warp_exchange_kernelILj256ELj1ELj64EN6common18BlockedToStripedOpEiEvPT3_j
                                        ; -- End function
	.section	.AMDGPU.csdata,"",@progbits
; Kernel info:
; codeLenInByte = 156
; NumSgprs: 11
; NumVgprs: 4
; NumAgprs: 0
; TotalNumVgprs: 4
; ScratchSize: 0
; MemoryBound: 0
; FloatMode: 240
; IeeeMode: 1
; LDSByteSize: 1024 bytes/workgroup (compile time only)
; SGPRBlocks: 1
; VGPRBlocks: 0
; NumSGPRsForWavesPerEU: 11
; NumVGPRsForWavesPerEU: 4
; AccumOffset: 4
; Occupancy: 8
; WaveLimiterHint : 0
; COMPUTE_PGM_RSRC2:SCRATCH_EN: 0
; COMPUTE_PGM_RSRC2:USER_SGPR: 6
; COMPUTE_PGM_RSRC2:TRAP_HANDLER: 0
; COMPUTE_PGM_RSRC2:TGID_X_EN: 1
; COMPUTE_PGM_RSRC2:TGID_Y_EN: 0
; COMPUTE_PGM_RSRC2:TGID_Z_EN: 0
; COMPUTE_PGM_RSRC2:TIDIG_COMP_CNT: 0
; COMPUTE_PGM_RSRC3_GFX90A:ACCUM_OFFSET: 0
; COMPUTE_PGM_RSRC3_GFX90A:TG_SPLIT: 0
	.section	.text._Z20warp_exchange_kernelILj256ELj4ELj64EN6common18BlockedToStripedOpEiEvPT3_j,"axG",@progbits,_Z20warp_exchange_kernelILj256ELj4ELj64EN6common18BlockedToStripedOpEiEvPT3_j,comdat
	.protected	_Z20warp_exchange_kernelILj256ELj4ELj64EN6common18BlockedToStripedOpEiEvPT3_j ; -- Begin function _Z20warp_exchange_kernelILj256ELj4ELj64EN6common18BlockedToStripedOpEiEvPT3_j
	.globl	_Z20warp_exchange_kernelILj256ELj4ELj64EN6common18BlockedToStripedOpEiEvPT3_j
	.p2align	8
	.type	_Z20warp_exchange_kernelILj256ELj4ELj64EN6common18BlockedToStripedOpEiEvPT3_j,@function
_Z20warp_exchange_kernelILj256ELj4ELj64EN6common18BlockedToStripedOpEiEvPT3_j: ; @_Z20warp_exchange_kernelILj256ELj4ELj64EN6common18BlockedToStripedOpEiEvPT3_j
; %bb.0:
	s_load_dword s0, s[4:5], 0x8
	v_lshlrev_b32_e32 v4, 2, v0
	v_or_b32_e32 v1, 1, v4
	v_or_b32_e32 v2, 2, v4
	;; [unrolled: 1-line block ×3, first 2 shown]
	s_waitcnt lgkmcnt(0)
	s_cmp_eq_u32 s0, 0
	s_cbranch_scc1 .LBB95_3
; %bb.1:
	v_lshlrev_b32_e32 v0, 4, v0
	v_mbcnt_lo_u32_b32 v5, -1, 0
	v_and_b32_e32 v0, 0xc00, v0
	v_mbcnt_hi_u32_b32 v6, -1, v5
	v_lshl_add_u32 v5, v6, 4, v0
	v_lshl_or_b32 v6, v6, 2, v0
	v_mov_b32_e32 v0, v4
.LBB95_2:                               ; =>This Inner Loop Header: Depth=1
	s_waitcnt lgkmcnt(0)
	ds_write_b128 v5, v[0:3]
	; wave barrier
	ds_read2st64_b32 v[0:1], v6 offset1:1
	ds_read2st64_b32 v[2:3], v6 offset0:2 offset1:3
	s_add_i32 s0, s0, -1
	s_cmp_lg_u32 s0, 0
	; wave barrier
	s_cbranch_scc1 .LBB95_2
	s_branch .LBB95_4
.LBB95_3:
	v_mov_b32_e32 v5, v1
	v_mov_b32_e32 v6, v2
	;; [unrolled: 1-line block ×3, first 2 shown]
	v_pk_mov_b32 v[0:1], v[4:5], v[4:5] op_sel:[0,1]
	v_pk_mov_b32 v[2:3], v[6:7], v[6:7] op_sel:[0,1]
.LBB95_4:
	s_load_dwordx2 s[0:1], s[4:5], 0x0
	v_lshl_or_b32 v4, s6, 10, v4
	v_mov_b32_e32 v5, 0
	v_lshlrev_b64 v[4:5], 2, v[4:5]
	s_waitcnt lgkmcnt(0)
	v_mov_b32_e32 v6, s1
	v_add_co_u32_e32 v4, vcc, s0, v4
	v_addc_co_u32_e32 v5, vcc, v6, v5, vcc
	global_store_dwordx4 v[4:5], v[0:3], off
	s_endpgm
	.section	.rodata,"a",@progbits
	.p2align	6, 0x0
	.amdhsa_kernel _Z20warp_exchange_kernelILj256ELj4ELj64EN6common18BlockedToStripedOpEiEvPT3_j
		.amdhsa_group_segment_fixed_size 4096
		.amdhsa_private_segment_fixed_size 0
		.amdhsa_kernarg_size 12
		.amdhsa_user_sgpr_count 6
		.amdhsa_user_sgpr_private_segment_buffer 1
		.amdhsa_user_sgpr_dispatch_ptr 0
		.amdhsa_user_sgpr_queue_ptr 0
		.amdhsa_user_sgpr_kernarg_segment_ptr 1
		.amdhsa_user_sgpr_dispatch_id 0
		.amdhsa_user_sgpr_flat_scratch_init 0
		.amdhsa_user_sgpr_kernarg_preload_length 0
		.amdhsa_user_sgpr_kernarg_preload_offset 0
		.amdhsa_user_sgpr_private_segment_size 0
		.amdhsa_uses_dynamic_stack 0
		.amdhsa_system_sgpr_private_segment_wavefront_offset 0
		.amdhsa_system_sgpr_workgroup_id_x 1
		.amdhsa_system_sgpr_workgroup_id_y 0
		.amdhsa_system_sgpr_workgroup_id_z 0
		.amdhsa_system_sgpr_workgroup_info 0
		.amdhsa_system_vgpr_workitem_id 0
		.amdhsa_next_free_vgpr 8
		.amdhsa_next_free_sgpr 7
		.amdhsa_accum_offset 8
		.amdhsa_reserve_vcc 1
		.amdhsa_reserve_flat_scratch 0
		.amdhsa_float_round_mode_32 0
		.amdhsa_float_round_mode_16_64 0
		.amdhsa_float_denorm_mode_32 3
		.amdhsa_float_denorm_mode_16_64 3
		.amdhsa_dx10_clamp 1
		.amdhsa_ieee_mode 1
		.amdhsa_fp16_overflow 0
		.amdhsa_tg_split 0
		.amdhsa_exception_fp_ieee_invalid_op 0
		.amdhsa_exception_fp_denorm_src 0
		.amdhsa_exception_fp_ieee_div_zero 0
		.amdhsa_exception_fp_ieee_overflow 0
		.amdhsa_exception_fp_ieee_underflow 0
		.amdhsa_exception_fp_ieee_inexact 0
		.amdhsa_exception_int_div_zero 0
	.end_amdhsa_kernel
	.section	.text._Z20warp_exchange_kernelILj256ELj4ELj64EN6common18BlockedToStripedOpEiEvPT3_j,"axG",@progbits,_Z20warp_exchange_kernelILj256ELj4ELj64EN6common18BlockedToStripedOpEiEvPT3_j,comdat
.Lfunc_end95:
	.size	_Z20warp_exchange_kernelILj256ELj4ELj64EN6common18BlockedToStripedOpEiEvPT3_j, .Lfunc_end95-_Z20warp_exchange_kernelILj256ELj4ELj64EN6common18BlockedToStripedOpEiEvPT3_j
                                        ; -- End function
	.section	.AMDGPU.csdata,"",@progbits
; Kernel info:
; codeLenInByte = 212
; NumSgprs: 11
; NumVgprs: 8
; NumAgprs: 0
; TotalNumVgprs: 8
; ScratchSize: 0
; MemoryBound: 0
; FloatMode: 240
; IeeeMode: 1
; LDSByteSize: 4096 bytes/workgroup (compile time only)
; SGPRBlocks: 1
; VGPRBlocks: 0
; NumSGPRsForWavesPerEU: 11
; NumVGPRsForWavesPerEU: 8
; AccumOffset: 8
; Occupancy: 8
; WaveLimiterHint : 0
; COMPUTE_PGM_RSRC2:SCRATCH_EN: 0
; COMPUTE_PGM_RSRC2:USER_SGPR: 6
; COMPUTE_PGM_RSRC2:TRAP_HANDLER: 0
; COMPUTE_PGM_RSRC2:TGID_X_EN: 1
; COMPUTE_PGM_RSRC2:TGID_Y_EN: 0
; COMPUTE_PGM_RSRC2:TGID_Z_EN: 0
; COMPUTE_PGM_RSRC2:TIDIG_COMP_CNT: 0
; COMPUTE_PGM_RSRC3_GFX90A:ACCUM_OFFSET: 1
; COMPUTE_PGM_RSRC3_GFX90A:TG_SPLIT: 0
	.section	.text._Z20warp_exchange_kernelILj256ELj16ELj64EN6common18BlockedToStripedOpEiEvPT3_j,"axG",@progbits,_Z20warp_exchange_kernelILj256ELj16ELj64EN6common18BlockedToStripedOpEiEvPT3_j,comdat
	.protected	_Z20warp_exchange_kernelILj256ELj16ELj64EN6common18BlockedToStripedOpEiEvPT3_j ; -- Begin function _Z20warp_exchange_kernelILj256ELj16ELj64EN6common18BlockedToStripedOpEiEvPT3_j
	.globl	_Z20warp_exchange_kernelILj256ELj16ELj64EN6common18BlockedToStripedOpEiEvPT3_j
	.p2align	8
	.type	_Z20warp_exchange_kernelILj256ELj16ELj64EN6common18BlockedToStripedOpEiEvPT3_j,@function
_Z20warp_exchange_kernelILj256ELj16ELj64EN6common18BlockedToStripedOpEiEvPT3_j: ; @_Z20warp_exchange_kernelILj256ELj16ELj64EN6common18BlockedToStripedOpEiEvPT3_j
; %bb.0:
	s_load_dword s0, s[4:5], 0x8
	v_lshlrev_b32_e32 v16, 4, v0
	v_or_b32_e32 v17, 1, v16
	v_or_b32_e32 v18, 2, v16
	;; [unrolled: 1-line block ×14, first 2 shown]
	s_waitcnt lgkmcnt(0)
	s_cmp_lg_u32 s0, 0
	v_or_b32_e32 v31, 15, v16
	s_cbranch_scc0 .LBB96_6
; %bb.1:
	v_lshlrev_b32_e32 v0, 6, v0
	v_mbcnt_lo_u32_b32 v1, -1, 0
	v_and_b32_e32 v0, 0x3000, v0
	v_mbcnt_hi_u32_b32 v1, -1, v1
	v_lshl_add_u32 v32, v1, 6, v0
	v_lshl_or_b32 v33, v1, 2, v0
	v_mov_b32_e32 v8, v16
	v_mov_b32_e32 v9, v17
	;; [unrolled: 1-line block ×16, first 2 shown]
.LBB96_2:                               ; =>This Inner Loop Header: Depth=1
	s_waitcnt lgkmcnt(6)
	ds_write_b128 v32, v[8:11]
	s_waitcnt lgkmcnt(5)
	ds_write_b128 v32, v[12:15] offset:16
	s_waitcnt lgkmcnt(4)
	ds_write_b128 v32, v[4:7] offset:32
	;; [unrolled: 2-line block ×3, first 2 shown]
	; wave barrier
	ds_read2st64_b32 v[8:9], v33 offset1:1
	ds_read2st64_b32 v[10:11], v33 offset0:2 offset1:3
	ds_read2st64_b32 v[12:13], v33 offset0:4 offset1:5
	;; [unrolled: 1-line block ×7, first 2 shown]
	s_add_i32 s0, s0, -1
	s_cmp_lg_u32 s0, 0
	; wave barrier
	s_cbranch_scc1 .LBB96_2
; %bb.3:
	s_branch .LBB96_5
.LBB96_4:
	s_waitcnt lgkmcnt(6)
	v_pk_mov_b32 v[10:11], v[18:19], v[18:19] op_sel:[0,1]
	s_waitcnt lgkmcnt(5)
	v_pk_mov_b32 v[12:13], v[20:21], v[20:21] op_sel:[0,1]
	;; [unrolled: 2-line block ×7, first 2 shown]
	v_pk_mov_b32 v[8:9], v[16:17], v[16:17] op_sel:[0,1]
.LBB96_5:
	s_load_dwordx2 s[0:1], s[4:5], 0x0
	v_lshl_or_b32 v16, s6, 12, v16
	v_mov_b32_e32 v17, 0
	v_lshlrev_b64 v[16:17], 2, v[16:17]
	s_waitcnt lgkmcnt(0)
	v_mov_b32_e32 v18, s1
	v_add_co_u32_e32 v16, vcc, s0, v16
	v_addc_co_u32_e32 v17, vcc, v18, v17, vcc
	global_store_dwordx4 v[16:17], v[8:11], off
	global_store_dwordx4 v[16:17], v[12:15], off offset:16
	global_store_dwordx4 v[16:17], v[4:7], off offset:32
	;; [unrolled: 1-line block ×3, first 2 shown]
	s_endpgm
.LBB96_6:
                                        ; implicit-def: $vgpr8_vgpr9
                                        ; implicit-def: $vgpr2_vgpr3
                                        ; implicit-def: $vgpr6_vgpr7
                                        ; implicit-def: $vgpr14_vgpr15
	s_cbranch_execnz .LBB96_4
	s_branch .LBB96_5
	.section	.rodata,"a",@progbits
	.p2align	6, 0x0
	.amdhsa_kernel _Z20warp_exchange_kernelILj256ELj16ELj64EN6common18BlockedToStripedOpEiEvPT3_j
		.amdhsa_group_segment_fixed_size 16384
		.amdhsa_private_segment_fixed_size 0
		.amdhsa_kernarg_size 12
		.amdhsa_user_sgpr_count 6
		.amdhsa_user_sgpr_private_segment_buffer 1
		.amdhsa_user_sgpr_dispatch_ptr 0
		.amdhsa_user_sgpr_queue_ptr 0
		.amdhsa_user_sgpr_kernarg_segment_ptr 1
		.amdhsa_user_sgpr_dispatch_id 0
		.amdhsa_user_sgpr_flat_scratch_init 0
		.amdhsa_user_sgpr_kernarg_preload_length 0
		.amdhsa_user_sgpr_kernarg_preload_offset 0
		.amdhsa_user_sgpr_private_segment_size 0
		.amdhsa_uses_dynamic_stack 0
		.amdhsa_system_sgpr_private_segment_wavefront_offset 0
		.amdhsa_system_sgpr_workgroup_id_x 1
		.amdhsa_system_sgpr_workgroup_id_y 0
		.amdhsa_system_sgpr_workgroup_id_z 0
		.amdhsa_system_sgpr_workgroup_info 0
		.amdhsa_system_vgpr_workitem_id 0
		.amdhsa_next_free_vgpr 34
		.amdhsa_next_free_sgpr 7
		.amdhsa_accum_offset 36
		.amdhsa_reserve_vcc 1
		.amdhsa_reserve_flat_scratch 0
		.amdhsa_float_round_mode_32 0
		.amdhsa_float_round_mode_16_64 0
		.amdhsa_float_denorm_mode_32 3
		.amdhsa_float_denorm_mode_16_64 3
		.amdhsa_dx10_clamp 1
		.amdhsa_ieee_mode 1
		.amdhsa_fp16_overflow 0
		.amdhsa_tg_split 0
		.amdhsa_exception_fp_ieee_invalid_op 0
		.amdhsa_exception_fp_denorm_src 0
		.amdhsa_exception_fp_ieee_div_zero 0
		.amdhsa_exception_fp_ieee_overflow 0
		.amdhsa_exception_fp_ieee_underflow 0
		.amdhsa_exception_fp_ieee_inexact 0
		.amdhsa_exception_int_div_zero 0
	.end_amdhsa_kernel
	.section	.text._Z20warp_exchange_kernelILj256ELj16ELj64EN6common18BlockedToStripedOpEiEvPT3_j,"axG",@progbits,_Z20warp_exchange_kernelILj256ELj16ELj64EN6common18BlockedToStripedOpEiEvPT3_j,comdat
.Lfunc_end96:
	.size	_Z20warp_exchange_kernelILj256ELj16ELj64EN6common18BlockedToStripedOpEiEvPT3_j, .Lfunc_end96-_Z20warp_exchange_kernelILj256ELj16ELj64EN6common18BlockedToStripedOpEiEvPT3_j
                                        ; -- End function
	.section	.AMDGPU.csdata,"",@progbits
; Kernel info:
; codeLenInByte = 500
; NumSgprs: 11
; NumVgprs: 34
; NumAgprs: 0
; TotalNumVgprs: 34
; ScratchSize: 0
; MemoryBound: 0
; FloatMode: 240
; IeeeMode: 1
; LDSByteSize: 16384 bytes/workgroup (compile time only)
; SGPRBlocks: 1
; VGPRBlocks: 4
; NumSGPRsForWavesPerEU: 11
; NumVGPRsForWavesPerEU: 34
; AccumOffset: 36
; Occupancy: 4
; WaveLimiterHint : 0
; COMPUTE_PGM_RSRC2:SCRATCH_EN: 0
; COMPUTE_PGM_RSRC2:USER_SGPR: 6
; COMPUTE_PGM_RSRC2:TRAP_HANDLER: 0
; COMPUTE_PGM_RSRC2:TGID_X_EN: 1
; COMPUTE_PGM_RSRC2:TGID_Y_EN: 0
; COMPUTE_PGM_RSRC2:TGID_Z_EN: 0
; COMPUTE_PGM_RSRC2:TIDIG_COMP_CNT: 0
; COMPUTE_PGM_RSRC3_GFX90A:ACCUM_OFFSET: 8
; COMPUTE_PGM_RSRC3_GFX90A:TG_SPLIT: 0
	.section	.text._Z20warp_exchange_kernelILj256ELj64ELj64EN6common18BlockedToStripedOpEiEvPT3_j,"axG",@progbits,_Z20warp_exchange_kernelILj256ELj64ELj64EN6common18BlockedToStripedOpEiEvPT3_j,comdat
	.protected	_Z20warp_exchange_kernelILj256ELj64ELj64EN6common18BlockedToStripedOpEiEvPT3_j ; -- Begin function _Z20warp_exchange_kernelILj256ELj64ELj64EN6common18BlockedToStripedOpEiEvPT3_j
	.globl	_Z20warp_exchange_kernelILj256ELj64ELj64EN6common18BlockedToStripedOpEiEvPT3_j
	.p2align	8
	.type	_Z20warp_exchange_kernelILj256ELj64ELj64EN6common18BlockedToStripedOpEiEvPT3_j,@function
_Z20warp_exchange_kernelILj256ELj64ELj64EN6common18BlockedToStripedOpEiEvPT3_j: ; @_Z20warp_exchange_kernelILj256ELj64ELj64EN6common18BlockedToStripedOpEiEvPT3_j
; %bb.0:
	s_load_dword s0, s[4:5], 0x8
	v_lshlrev_b32_e32 v64, 6, v0
	v_or_b32_e32 v65, 1, v64
	v_or_b32_e32 v66, 2, v64
	;; [unrolled: 1-line block ×62, first 2 shown]
	s_waitcnt lgkmcnt(0)
	s_cmp_lg_u32 s0, 0
	v_or_b32_e32 v127, 63, v64
	s_cbranch_scc0 .LBB97_6
; %bb.1:
	v_lshlrev_b32_e32 v0, 8, v0
	v_mbcnt_lo_u32_b32 v1, -1, 0
	v_and_b32_e32 v0, 0xc000, v0
	v_mbcnt_hi_u32_b32 v1, -1, v1
	v_lshl_add_u32 v128, v1, 8, v0
	v_lshl_or_b32 v129, v1, 2, v0
	v_mov_b32_e32 v32, v64
	v_mov_b32_e32 v33, v65
	;; [unrolled: 1-line block ×64, first 2 shown]
.LBB97_2:                               ; =>This Inner Loop Header: Depth=1
	s_waitcnt lgkmcnt(14)
	ds_write_b128 v128, v[32:35]
	ds_write_b128 v128, v[60:63] offset:16
	ds_write_b128 v128, v[56:59] offset:32
	;; [unrolled: 1-line block ×8, first 2 shown]
	s_waitcnt lgkmcnt(14)
	ds_write_b128 v128, v[24:27] offset:144
	ds_write_b128 v128, v[20:23] offset:160
	;; [unrolled: 1-line block ×4, first 2 shown]
	s_waitcnt lgkmcnt(14)
	ds_write_b128 v128, v[8:11] offset:208
	ds_write_b128 v128, v[4:7] offset:224
	s_waitcnt lgkmcnt(14)
	ds_write_b128 v128, v[0:3] offset:240
	; wave barrier
	ds_read2st64_b32 v[32:33], v129 offset1:1
	ds_read2st64_b32 v[34:35], v129 offset0:2 offset1:3
	ds_read2st64_b32 v[60:61], v129 offset0:4 offset1:5
	;; [unrolled: 1-line block ×31, first 2 shown]
	s_add_i32 s0, s0, -1
	s_cmp_lg_u32 s0, 0
	; wave barrier
	s_cbranch_scc1 .LBB97_2
; %bb.3:
	s_branch .LBB97_5
.LBB97_4:
	s_waitcnt lgkmcnt(14)
	v_pk_mov_b32 v[34:35], v[66:67], v[66:67] op_sel:[0,1]
	v_pk_mov_b32 v[60:61], v[68:69], v[68:69] op_sel:[0,1]
	;; [unrolled: 1-line block ×17, first 2 shown]
	s_waitcnt lgkmcnt(13)
	v_pk_mov_b32 v[24:25], v[100:101], v[100:101] op_sel:[0,1]
	s_waitcnt lgkmcnt(12)
	v_pk_mov_b32 v[26:27], v[102:103], v[102:103] op_sel:[0,1]
	;; [unrolled: 2-line block ×14, first 2 shown]
	v_pk_mov_b32 v[32:33], v[64:65], v[64:65] op_sel:[0,1]
.LBB97_5:
	s_load_dwordx2 s[0:1], s[4:5], 0x0
	v_lshl_or_b32 v64, s6, 14, v64
	v_mov_b32_e32 v65, 0
	v_lshlrev_b64 v[64:65], 2, v[64:65]
	s_waitcnt lgkmcnt(0)
	v_mov_b32_e32 v66, s1
	v_add_co_u32_e32 v64, vcc, s0, v64
	v_addc_co_u32_e32 v65, vcc, v66, v65, vcc
	global_store_dwordx4 v[64:65], v[32:35], off
	global_store_dwordx4 v[64:65], v[60:63], off offset:16
	global_store_dwordx4 v[64:65], v[56:59], off offset:32
	;; [unrolled: 1-line block ×15, first 2 shown]
	s_endpgm
.LBB97_6:
                                        ; implicit-def: $vgpr32_vgpr33
                                        ; implicit-def: $vgpr2_vgpr3
                                        ; implicit-def: $vgpr6_vgpr7
                                        ; implicit-def: $vgpr10_vgpr11
                                        ; implicit-def: $vgpr14_vgpr15
                                        ; implicit-def: $vgpr18_vgpr19
                                        ; implicit-def: $vgpr22_vgpr23
                                        ; implicit-def: $vgpr26_vgpr27
                                        ; implicit-def: $vgpr30_vgpr31
                                        ; implicit-def: $vgpr38_vgpr39
                                        ; implicit-def: $vgpr42_vgpr43
                                        ; implicit-def: $vgpr46_vgpr47
                                        ; implicit-def: $vgpr50_vgpr51
                                        ; implicit-def: $vgpr54_vgpr55
                                        ; implicit-def: $vgpr58_vgpr59
                                        ; implicit-def: $vgpr62_vgpr63
	s_cbranch_execnz .LBB97_4
	s_branch .LBB97_5
	.section	.rodata,"a",@progbits
	.p2align	6, 0x0
	.amdhsa_kernel _Z20warp_exchange_kernelILj256ELj64ELj64EN6common18BlockedToStripedOpEiEvPT3_j
		.amdhsa_group_segment_fixed_size 65536
		.amdhsa_private_segment_fixed_size 0
		.amdhsa_kernarg_size 12
		.amdhsa_user_sgpr_count 6
		.amdhsa_user_sgpr_private_segment_buffer 1
		.amdhsa_user_sgpr_dispatch_ptr 0
		.amdhsa_user_sgpr_queue_ptr 0
		.amdhsa_user_sgpr_kernarg_segment_ptr 1
		.amdhsa_user_sgpr_dispatch_id 0
		.amdhsa_user_sgpr_flat_scratch_init 0
		.amdhsa_user_sgpr_kernarg_preload_length 0
		.amdhsa_user_sgpr_kernarg_preload_offset 0
		.amdhsa_user_sgpr_private_segment_size 0
		.amdhsa_uses_dynamic_stack 0
		.amdhsa_system_sgpr_private_segment_wavefront_offset 0
		.amdhsa_system_sgpr_workgroup_id_x 1
		.amdhsa_system_sgpr_workgroup_id_y 0
		.amdhsa_system_sgpr_workgroup_id_z 0
		.amdhsa_system_sgpr_workgroup_info 0
		.amdhsa_system_vgpr_workitem_id 0
		.amdhsa_next_free_vgpr 130
		.amdhsa_next_free_sgpr 7
		.amdhsa_accum_offset 132
		.amdhsa_reserve_vcc 1
		.amdhsa_reserve_flat_scratch 0
		.amdhsa_float_round_mode_32 0
		.amdhsa_float_round_mode_16_64 0
		.amdhsa_float_denorm_mode_32 3
		.amdhsa_float_denorm_mode_16_64 3
		.amdhsa_dx10_clamp 1
		.amdhsa_ieee_mode 1
		.amdhsa_fp16_overflow 0
		.amdhsa_tg_split 0
		.amdhsa_exception_fp_ieee_invalid_op 0
		.amdhsa_exception_fp_denorm_src 0
		.amdhsa_exception_fp_ieee_div_zero 0
		.amdhsa_exception_fp_ieee_overflow 0
		.amdhsa_exception_fp_ieee_underflow 0
		.amdhsa_exception_fp_ieee_inexact 0
		.amdhsa_exception_int_div_zero 0
	.end_amdhsa_kernel
	.section	.text._Z20warp_exchange_kernelILj256ELj64ELj64EN6common18BlockedToStripedOpEiEvPT3_j,"axG",@progbits,_Z20warp_exchange_kernelILj256ELj64ELj64EN6common18BlockedToStripedOpEiEvPT3_j,comdat
.Lfunc_end97:
	.size	_Z20warp_exchange_kernelILj256ELj64ELj64EN6common18BlockedToStripedOpEiEvPT3_j, .Lfunc_end97-_Z20warp_exchange_kernelILj256ELj64ELj64EN6common18BlockedToStripedOpEiEvPT3_j
                                        ; -- End function
	.section	.AMDGPU.csdata,"",@progbits
; Kernel info:
; codeLenInByte = 1492
; NumSgprs: 11
; NumVgprs: 130
; NumAgprs: 0
; TotalNumVgprs: 130
; ScratchSize: 0
; MemoryBound: 0
; FloatMode: 240
; IeeeMode: 1
; LDSByteSize: 65536 bytes/workgroup (compile time only)
; SGPRBlocks: 1
; VGPRBlocks: 16
; NumSGPRsForWavesPerEU: 11
; NumVGPRsForWavesPerEU: 130
; AccumOffset: 132
; Occupancy: 1
; WaveLimiterHint : 0
; COMPUTE_PGM_RSRC2:SCRATCH_EN: 0
; COMPUTE_PGM_RSRC2:USER_SGPR: 6
; COMPUTE_PGM_RSRC2:TRAP_HANDLER: 0
; COMPUTE_PGM_RSRC2:TGID_X_EN: 1
; COMPUTE_PGM_RSRC2:TGID_Y_EN: 0
; COMPUTE_PGM_RSRC2:TGID_Z_EN: 0
; COMPUTE_PGM_RSRC2:TIDIG_COMP_CNT: 0
; COMPUTE_PGM_RSRC3_GFX90A:ACCUM_OFFSET: 32
; COMPUTE_PGM_RSRC3_GFX90A:TG_SPLIT: 0
	.section	.text._Z20warp_exchange_kernelILj256ELj1ELj64EN6common18StripedToBlockedOpEiEvPT3_j,"axG",@progbits,_Z20warp_exchange_kernelILj256ELj1ELj64EN6common18StripedToBlockedOpEiEvPT3_j,comdat
	.protected	_Z20warp_exchange_kernelILj256ELj1ELj64EN6common18StripedToBlockedOpEiEvPT3_j ; -- Begin function _Z20warp_exchange_kernelILj256ELj1ELj64EN6common18StripedToBlockedOpEiEvPT3_j
	.globl	_Z20warp_exchange_kernelILj256ELj1ELj64EN6common18StripedToBlockedOpEiEvPT3_j
	.p2align	8
	.type	_Z20warp_exchange_kernelILj256ELj1ELj64EN6common18StripedToBlockedOpEiEvPT3_j,@function
_Z20warp_exchange_kernelILj256ELj1ELj64EN6common18StripedToBlockedOpEiEvPT3_j: ; @_Z20warp_exchange_kernelILj256ELj1ELj64EN6common18StripedToBlockedOpEiEvPT3_j
; %bb.0:
	s_load_dword s0, s[4:5], 0x8
	s_waitcnt lgkmcnt(0)
	s_cmp_eq_u32 s0, 0
	s_cbranch_scc1 .LBB98_3
; %bb.1:
	v_lshlrev_b32_e32 v1, 2, v0
	v_mbcnt_lo_u32_b32 v2, -1, 0
	v_and_b32_e32 v1, 0x300, v1
	v_mbcnt_hi_u32_b32 v2, -1, v2
	v_lshl_add_u32 v2, v2, 2, v1
	v_mov_b32_e32 v1, v0
.LBB98_2:                               ; =>This Inner Loop Header: Depth=1
	s_waitcnt lgkmcnt(0)
	ds_write_b32 v2, v1
	; wave barrier
	ds_read_b32 v1, v2
	s_add_i32 s0, s0, -1
	s_cmp_lg_u32 s0, 0
	; wave barrier
	s_cbranch_scc1 .LBB98_2
	s_branch .LBB98_4
.LBB98_3:
	v_mov_b32_e32 v1, v0
.LBB98_4:
	s_load_dwordx2 s[0:1], s[4:5], 0x0
	v_lshl_or_b32 v2, s6, 8, v0
	v_mov_b32_e32 v3, 0
	v_lshlrev_b64 v[2:3], 2, v[2:3]
	s_waitcnt lgkmcnt(0)
	v_mov_b32_e32 v0, s1
	v_add_co_u32_e32 v2, vcc, s0, v2
	v_addc_co_u32_e32 v3, vcc, v0, v3, vcc
	global_store_dword v[2:3], v1, off
	s_endpgm
	.section	.rodata,"a",@progbits
	.p2align	6, 0x0
	.amdhsa_kernel _Z20warp_exchange_kernelILj256ELj1ELj64EN6common18StripedToBlockedOpEiEvPT3_j
		.amdhsa_group_segment_fixed_size 1024
		.amdhsa_private_segment_fixed_size 0
		.amdhsa_kernarg_size 12
		.amdhsa_user_sgpr_count 6
		.amdhsa_user_sgpr_private_segment_buffer 1
		.amdhsa_user_sgpr_dispatch_ptr 0
		.amdhsa_user_sgpr_queue_ptr 0
		.amdhsa_user_sgpr_kernarg_segment_ptr 1
		.amdhsa_user_sgpr_dispatch_id 0
		.amdhsa_user_sgpr_flat_scratch_init 0
		.amdhsa_user_sgpr_kernarg_preload_length 0
		.amdhsa_user_sgpr_kernarg_preload_offset 0
		.amdhsa_user_sgpr_private_segment_size 0
		.amdhsa_uses_dynamic_stack 0
		.amdhsa_system_sgpr_private_segment_wavefront_offset 0
		.amdhsa_system_sgpr_workgroup_id_x 1
		.amdhsa_system_sgpr_workgroup_id_y 0
		.amdhsa_system_sgpr_workgroup_id_z 0
		.amdhsa_system_sgpr_workgroup_info 0
		.amdhsa_system_vgpr_workitem_id 0
		.amdhsa_next_free_vgpr 4
		.amdhsa_next_free_sgpr 7
		.amdhsa_accum_offset 4
		.amdhsa_reserve_vcc 1
		.amdhsa_reserve_flat_scratch 0
		.amdhsa_float_round_mode_32 0
		.amdhsa_float_round_mode_16_64 0
		.amdhsa_float_denorm_mode_32 3
		.amdhsa_float_denorm_mode_16_64 3
		.amdhsa_dx10_clamp 1
		.amdhsa_ieee_mode 1
		.amdhsa_fp16_overflow 0
		.amdhsa_tg_split 0
		.amdhsa_exception_fp_ieee_invalid_op 0
		.amdhsa_exception_fp_denorm_src 0
		.amdhsa_exception_fp_ieee_div_zero 0
		.amdhsa_exception_fp_ieee_overflow 0
		.amdhsa_exception_fp_ieee_underflow 0
		.amdhsa_exception_fp_ieee_inexact 0
		.amdhsa_exception_int_div_zero 0
	.end_amdhsa_kernel
	.section	.text._Z20warp_exchange_kernelILj256ELj1ELj64EN6common18StripedToBlockedOpEiEvPT3_j,"axG",@progbits,_Z20warp_exchange_kernelILj256ELj1ELj64EN6common18StripedToBlockedOpEiEvPT3_j,comdat
.Lfunc_end98:
	.size	_Z20warp_exchange_kernelILj256ELj1ELj64EN6common18StripedToBlockedOpEiEvPT3_j, .Lfunc_end98-_Z20warp_exchange_kernelILj256ELj1ELj64EN6common18StripedToBlockedOpEiEvPT3_j
                                        ; -- End function
	.section	.AMDGPU.csdata,"",@progbits
; Kernel info:
; codeLenInByte = 156
; NumSgprs: 11
; NumVgprs: 4
; NumAgprs: 0
; TotalNumVgprs: 4
; ScratchSize: 0
; MemoryBound: 0
; FloatMode: 240
; IeeeMode: 1
; LDSByteSize: 1024 bytes/workgroup (compile time only)
; SGPRBlocks: 1
; VGPRBlocks: 0
; NumSGPRsForWavesPerEU: 11
; NumVGPRsForWavesPerEU: 4
; AccumOffset: 4
; Occupancy: 8
; WaveLimiterHint : 0
; COMPUTE_PGM_RSRC2:SCRATCH_EN: 0
; COMPUTE_PGM_RSRC2:USER_SGPR: 6
; COMPUTE_PGM_RSRC2:TRAP_HANDLER: 0
; COMPUTE_PGM_RSRC2:TGID_X_EN: 1
; COMPUTE_PGM_RSRC2:TGID_Y_EN: 0
; COMPUTE_PGM_RSRC2:TGID_Z_EN: 0
; COMPUTE_PGM_RSRC2:TIDIG_COMP_CNT: 0
; COMPUTE_PGM_RSRC3_GFX90A:ACCUM_OFFSET: 0
; COMPUTE_PGM_RSRC3_GFX90A:TG_SPLIT: 0
	.section	.text._Z20warp_exchange_kernelILj256ELj4ELj64EN6common18StripedToBlockedOpEiEvPT3_j,"axG",@progbits,_Z20warp_exchange_kernelILj256ELj4ELj64EN6common18StripedToBlockedOpEiEvPT3_j,comdat
	.protected	_Z20warp_exchange_kernelILj256ELj4ELj64EN6common18StripedToBlockedOpEiEvPT3_j ; -- Begin function _Z20warp_exchange_kernelILj256ELj4ELj64EN6common18StripedToBlockedOpEiEvPT3_j
	.globl	_Z20warp_exchange_kernelILj256ELj4ELj64EN6common18StripedToBlockedOpEiEvPT3_j
	.p2align	8
	.type	_Z20warp_exchange_kernelILj256ELj4ELj64EN6common18StripedToBlockedOpEiEvPT3_j,@function
_Z20warp_exchange_kernelILj256ELj4ELj64EN6common18StripedToBlockedOpEiEvPT3_j: ; @_Z20warp_exchange_kernelILj256ELj4ELj64EN6common18StripedToBlockedOpEiEvPT3_j
; %bb.0:
	s_load_dword s0, s[4:5], 0x8
	v_lshlrev_b32_e32 v4, 2, v0
	v_or_b32_e32 v1, 1, v4
	v_or_b32_e32 v2, 2, v4
	;; [unrolled: 1-line block ×3, first 2 shown]
	s_waitcnt lgkmcnt(0)
	s_cmp_eq_u32 s0, 0
	s_cbranch_scc1 .LBB99_3
; %bb.1:
	v_lshlrev_b32_e32 v0, 4, v0
	v_mbcnt_lo_u32_b32 v5, -1, 0
	v_and_b32_e32 v0, 0xc00, v0
	v_mbcnt_hi_u32_b32 v6, -1, v5
	v_lshl_or_b32 v5, v6, 2, v0
	v_lshl_add_u32 v6, v6, 4, v0
	v_mov_b32_e32 v0, v4
.LBB99_2:                               ; =>This Inner Loop Header: Depth=1
	s_waitcnt lgkmcnt(0)
	ds_write2st64_b32 v5, v0, v1 offset1:1
	ds_write2st64_b32 v5, v2, v3 offset0:2 offset1:3
	; wave barrier
	ds_read_b128 v[0:3], v6
	s_add_i32 s0, s0, -1
	s_cmp_lg_u32 s0, 0
	; wave barrier
	s_cbranch_scc1 .LBB99_2
	s_branch .LBB99_4
.LBB99_3:
	v_mov_b32_e32 v5, v1
	v_mov_b32_e32 v6, v2
	;; [unrolled: 1-line block ×3, first 2 shown]
	v_pk_mov_b32 v[0:1], v[4:5], v[4:5] op_sel:[0,1]
	v_pk_mov_b32 v[2:3], v[6:7], v[6:7] op_sel:[0,1]
.LBB99_4:
	s_load_dwordx2 s[0:1], s[4:5], 0x0
	v_lshl_or_b32 v4, s6, 10, v4
	v_mov_b32_e32 v5, 0
	v_lshlrev_b64 v[4:5], 2, v[4:5]
	s_waitcnt lgkmcnt(0)
	v_mov_b32_e32 v6, s1
	v_add_co_u32_e32 v4, vcc, s0, v4
	v_addc_co_u32_e32 v5, vcc, v6, v5, vcc
	global_store_dwordx4 v[4:5], v[0:3], off
	s_endpgm
	.section	.rodata,"a",@progbits
	.p2align	6, 0x0
	.amdhsa_kernel _Z20warp_exchange_kernelILj256ELj4ELj64EN6common18StripedToBlockedOpEiEvPT3_j
		.amdhsa_group_segment_fixed_size 4096
		.amdhsa_private_segment_fixed_size 0
		.amdhsa_kernarg_size 12
		.amdhsa_user_sgpr_count 6
		.amdhsa_user_sgpr_private_segment_buffer 1
		.amdhsa_user_sgpr_dispatch_ptr 0
		.amdhsa_user_sgpr_queue_ptr 0
		.amdhsa_user_sgpr_kernarg_segment_ptr 1
		.amdhsa_user_sgpr_dispatch_id 0
		.amdhsa_user_sgpr_flat_scratch_init 0
		.amdhsa_user_sgpr_kernarg_preload_length 0
		.amdhsa_user_sgpr_kernarg_preload_offset 0
		.amdhsa_user_sgpr_private_segment_size 0
		.amdhsa_uses_dynamic_stack 0
		.amdhsa_system_sgpr_private_segment_wavefront_offset 0
		.amdhsa_system_sgpr_workgroup_id_x 1
		.amdhsa_system_sgpr_workgroup_id_y 0
		.amdhsa_system_sgpr_workgroup_id_z 0
		.amdhsa_system_sgpr_workgroup_info 0
		.amdhsa_system_vgpr_workitem_id 0
		.amdhsa_next_free_vgpr 8
		.amdhsa_next_free_sgpr 7
		.amdhsa_accum_offset 8
		.amdhsa_reserve_vcc 1
		.amdhsa_reserve_flat_scratch 0
		.amdhsa_float_round_mode_32 0
		.amdhsa_float_round_mode_16_64 0
		.amdhsa_float_denorm_mode_32 3
		.amdhsa_float_denorm_mode_16_64 3
		.amdhsa_dx10_clamp 1
		.amdhsa_ieee_mode 1
		.amdhsa_fp16_overflow 0
		.amdhsa_tg_split 0
		.amdhsa_exception_fp_ieee_invalid_op 0
		.amdhsa_exception_fp_denorm_src 0
		.amdhsa_exception_fp_ieee_div_zero 0
		.amdhsa_exception_fp_ieee_overflow 0
		.amdhsa_exception_fp_ieee_underflow 0
		.amdhsa_exception_fp_ieee_inexact 0
		.amdhsa_exception_int_div_zero 0
	.end_amdhsa_kernel
	.section	.text._Z20warp_exchange_kernelILj256ELj4ELj64EN6common18StripedToBlockedOpEiEvPT3_j,"axG",@progbits,_Z20warp_exchange_kernelILj256ELj4ELj64EN6common18StripedToBlockedOpEiEvPT3_j,comdat
.Lfunc_end99:
	.size	_Z20warp_exchange_kernelILj256ELj4ELj64EN6common18StripedToBlockedOpEiEvPT3_j, .Lfunc_end99-_Z20warp_exchange_kernelILj256ELj4ELj64EN6common18StripedToBlockedOpEiEvPT3_j
                                        ; -- End function
	.section	.AMDGPU.csdata,"",@progbits
; Kernel info:
; codeLenInByte = 212
; NumSgprs: 11
; NumVgprs: 8
; NumAgprs: 0
; TotalNumVgprs: 8
; ScratchSize: 0
; MemoryBound: 0
; FloatMode: 240
; IeeeMode: 1
; LDSByteSize: 4096 bytes/workgroup (compile time only)
; SGPRBlocks: 1
; VGPRBlocks: 0
; NumSGPRsForWavesPerEU: 11
; NumVGPRsForWavesPerEU: 8
; AccumOffset: 8
; Occupancy: 8
; WaveLimiterHint : 0
; COMPUTE_PGM_RSRC2:SCRATCH_EN: 0
; COMPUTE_PGM_RSRC2:USER_SGPR: 6
; COMPUTE_PGM_RSRC2:TRAP_HANDLER: 0
; COMPUTE_PGM_RSRC2:TGID_X_EN: 1
; COMPUTE_PGM_RSRC2:TGID_Y_EN: 0
; COMPUTE_PGM_RSRC2:TGID_Z_EN: 0
; COMPUTE_PGM_RSRC2:TIDIG_COMP_CNT: 0
; COMPUTE_PGM_RSRC3_GFX90A:ACCUM_OFFSET: 1
; COMPUTE_PGM_RSRC3_GFX90A:TG_SPLIT: 0
	.section	.text._Z20warp_exchange_kernelILj256ELj16ELj64EN6common18StripedToBlockedOpEiEvPT3_j,"axG",@progbits,_Z20warp_exchange_kernelILj256ELj16ELj64EN6common18StripedToBlockedOpEiEvPT3_j,comdat
	.protected	_Z20warp_exchange_kernelILj256ELj16ELj64EN6common18StripedToBlockedOpEiEvPT3_j ; -- Begin function _Z20warp_exchange_kernelILj256ELj16ELj64EN6common18StripedToBlockedOpEiEvPT3_j
	.globl	_Z20warp_exchange_kernelILj256ELj16ELj64EN6common18StripedToBlockedOpEiEvPT3_j
	.p2align	8
	.type	_Z20warp_exchange_kernelILj256ELj16ELj64EN6common18StripedToBlockedOpEiEvPT3_j,@function
_Z20warp_exchange_kernelILj256ELj16ELj64EN6common18StripedToBlockedOpEiEvPT3_j: ; @_Z20warp_exchange_kernelILj256ELj16ELj64EN6common18StripedToBlockedOpEiEvPT3_j
; %bb.0:
	s_load_dword s0, s[4:5], 0x8
	v_lshlrev_b32_e32 v18, 4, v0
	v_or_b32_e32 v15, 1, v18
	v_or_b32_e32 v17, 3, v18
	;; [unrolled: 1-line block ×14, first 2 shown]
	s_waitcnt lgkmcnt(0)
	s_cmp_eq_u32 s0, 0
	v_or_b32_e32 v4, 14, v18
	s_cbranch_scc1 .LBB100_3
; %bb.1:
	v_lshlrev_b32_e32 v0, 6, v0
	v_and_b32_e32 v1, 0x3000, v0
	v_mbcnt_lo_u32_b32 v0, -1, 0
	v_mbcnt_hi_u32_b32 v14, -1, v0
	v_lshl_or_b32 v0, v14, 2, v1
	v_lshl_add_u32 v1, v14, 6, v1
	v_mov_b32_e32 v14, v18
.LBB100_2:                              ; =>This Inner Loop Header: Depth=1
	s_waitcnt lgkmcnt(3)
	ds_write2st64_b32 v0, v14, v15 offset1:1
	ds_write2st64_b32 v0, v16, v17 offset0:2 offset1:3
	s_waitcnt lgkmcnt(4)
	ds_write2st64_b32 v0, v10, v11 offset0:4 offset1:5
	ds_write2st64_b32 v0, v12, v13 offset0:6 offset1:7
	s_waitcnt lgkmcnt(5)
	ds_write2st64_b32 v0, v6, v7 offset0:8 offset1:9
	;; [unrolled: 3-line block ×3, first 2 shown]
	ds_write2st64_b32 v0, v4, v5 offset0:14 offset1:15
	; wave barrier
	ds_read_b128 v[14:17], v1
	ds_read_b128 v[10:13], v1 offset:16
	ds_read_b128 v[6:9], v1 offset:32
	;; [unrolled: 1-line block ×3, first 2 shown]
	s_add_i32 s0, s0, -1
	s_cmp_lg_u32 s0, 0
	; wave barrier
	s_cbranch_scc1 .LBB100_2
	s_branch .LBB100_4
.LBB100_3:
	v_mov_b32_e32 v19, v15
	v_pk_mov_b32 v[14:15], v[18:19], v[18:19] op_sel:[0,1]
.LBB100_4:
	s_load_dwordx2 s[0:1], s[4:5], 0x0
	v_lshl_or_b32 v0, s6, 12, v18
	v_mov_b32_e32 v1, 0
	v_lshlrev_b64 v[0:1], 2, v[0:1]
	s_waitcnt lgkmcnt(0)
	v_mov_b32_e32 v18, s1
	v_add_co_u32_e32 v0, vcc, s0, v0
	v_addc_co_u32_e32 v1, vcc, v18, v1, vcc
	global_store_dwordx4 v[0:1], v[14:17], off
	global_store_dwordx4 v[0:1], v[10:13], off offset:16
	global_store_dwordx4 v[0:1], v[6:9], off offset:32
	;; [unrolled: 1-line block ×3, first 2 shown]
	s_endpgm
	.section	.rodata,"a",@progbits
	.p2align	6, 0x0
	.amdhsa_kernel _Z20warp_exchange_kernelILj256ELj16ELj64EN6common18StripedToBlockedOpEiEvPT3_j
		.amdhsa_group_segment_fixed_size 16384
		.amdhsa_private_segment_fixed_size 0
		.amdhsa_kernarg_size 12
		.amdhsa_user_sgpr_count 6
		.amdhsa_user_sgpr_private_segment_buffer 1
		.amdhsa_user_sgpr_dispatch_ptr 0
		.amdhsa_user_sgpr_queue_ptr 0
		.amdhsa_user_sgpr_kernarg_segment_ptr 1
		.amdhsa_user_sgpr_dispatch_id 0
		.amdhsa_user_sgpr_flat_scratch_init 0
		.amdhsa_user_sgpr_kernarg_preload_length 0
		.amdhsa_user_sgpr_kernarg_preload_offset 0
		.amdhsa_user_sgpr_private_segment_size 0
		.amdhsa_uses_dynamic_stack 0
		.amdhsa_system_sgpr_private_segment_wavefront_offset 0
		.amdhsa_system_sgpr_workgroup_id_x 1
		.amdhsa_system_sgpr_workgroup_id_y 0
		.amdhsa_system_sgpr_workgroup_id_z 0
		.amdhsa_system_sgpr_workgroup_info 0
		.amdhsa_system_vgpr_workitem_id 0
		.amdhsa_next_free_vgpr 20
		.amdhsa_next_free_sgpr 7
		.amdhsa_accum_offset 20
		.amdhsa_reserve_vcc 1
		.amdhsa_reserve_flat_scratch 0
		.amdhsa_float_round_mode_32 0
		.amdhsa_float_round_mode_16_64 0
		.amdhsa_float_denorm_mode_32 3
		.amdhsa_float_denorm_mode_16_64 3
		.amdhsa_dx10_clamp 1
		.amdhsa_ieee_mode 1
		.amdhsa_fp16_overflow 0
		.amdhsa_tg_split 0
		.amdhsa_exception_fp_ieee_invalid_op 0
		.amdhsa_exception_fp_denorm_src 0
		.amdhsa_exception_fp_ieee_div_zero 0
		.amdhsa_exception_fp_ieee_overflow 0
		.amdhsa_exception_fp_ieee_underflow 0
		.amdhsa_exception_fp_ieee_inexact 0
		.amdhsa_exception_int_div_zero 0
	.end_amdhsa_kernel
	.section	.text._Z20warp_exchange_kernelILj256ELj16ELj64EN6common18StripedToBlockedOpEiEvPT3_j,"axG",@progbits,_Z20warp_exchange_kernelILj256ELj16ELj64EN6common18StripedToBlockedOpEiEvPT3_j,comdat
.Lfunc_end100:
	.size	_Z20warp_exchange_kernelILj256ELj16ELj64EN6common18StripedToBlockedOpEiEvPT3_j, .Lfunc_end100-_Z20warp_exchange_kernelILj256ELj16ELj64EN6common18StripedToBlockedOpEiEvPT3_j
                                        ; -- End function
	.section	.AMDGPU.csdata,"",@progbits
; Kernel info:
; codeLenInByte = 352
; NumSgprs: 11
; NumVgprs: 20
; NumAgprs: 0
; TotalNumVgprs: 20
; ScratchSize: 0
; MemoryBound: 0
; FloatMode: 240
; IeeeMode: 1
; LDSByteSize: 16384 bytes/workgroup (compile time only)
; SGPRBlocks: 1
; VGPRBlocks: 2
; NumSGPRsForWavesPerEU: 11
; NumVGPRsForWavesPerEU: 20
; AccumOffset: 20
; Occupancy: 4
; WaveLimiterHint : 0
; COMPUTE_PGM_RSRC2:SCRATCH_EN: 0
; COMPUTE_PGM_RSRC2:USER_SGPR: 6
; COMPUTE_PGM_RSRC2:TRAP_HANDLER: 0
; COMPUTE_PGM_RSRC2:TGID_X_EN: 1
; COMPUTE_PGM_RSRC2:TGID_Y_EN: 0
; COMPUTE_PGM_RSRC2:TGID_Z_EN: 0
; COMPUTE_PGM_RSRC2:TIDIG_COMP_CNT: 0
; COMPUTE_PGM_RSRC3_GFX90A:ACCUM_OFFSET: 4
; COMPUTE_PGM_RSRC3_GFX90A:TG_SPLIT: 0
	.section	.text._Z20warp_exchange_kernelILj256ELj64ELj64EN6common18StripedToBlockedOpEiEvPT3_j,"axG",@progbits,_Z20warp_exchange_kernelILj256ELj64ELj64EN6common18StripedToBlockedOpEiEvPT3_j,comdat
	.protected	_Z20warp_exchange_kernelILj256ELj64ELj64EN6common18StripedToBlockedOpEiEvPT3_j ; -- Begin function _Z20warp_exchange_kernelILj256ELj64ELj64EN6common18StripedToBlockedOpEiEvPT3_j
	.globl	_Z20warp_exchange_kernelILj256ELj64ELj64EN6common18StripedToBlockedOpEiEvPT3_j
	.p2align	8
	.type	_Z20warp_exchange_kernelILj256ELj64ELj64EN6common18StripedToBlockedOpEiEvPT3_j,@function
_Z20warp_exchange_kernelILj256ELj64ELj64EN6common18StripedToBlockedOpEiEvPT3_j: ; @_Z20warp_exchange_kernelILj256ELj64ELj64EN6common18StripedToBlockedOpEiEvPT3_j
; %bb.0:
	s_load_dword s0, s[4:5], 0x8
	v_lshlrev_b32_e32 v66, 6, v0
	v_or_b32_e32 v15, 1, v66
	v_or_b32_e32 v17, 3, v66
	;; [unrolled: 1-line block ×62, first 2 shown]
	s_waitcnt lgkmcnt(0)
	s_cmp_eq_u32 s0, 0
	v_or_b32_e32 v64, 62, v66
	s_cbranch_scc1 .LBB101_3
; %bb.1:
	v_lshlrev_b32_e32 v0, 8, v0
	v_and_b32_e32 v1, 0xc000, v0
	v_mbcnt_lo_u32_b32 v0, -1, 0
	v_mbcnt_hi_u32_b32 v14, -1, v0
	v_lshl_or_b32 v0, v14, 2, v1
	v_lshl_add_u32 v1, v14, 8, v1
	v_mov_b32_e32 v14, v66
.LBB101_2:                              ; =>This Inner Loop Header: Depth=1
	s_waitcnt lgkmcnt(14)
	ds_write2st64_b32 v0, v14, v15 offset1:1
	ds_write2st64_b32 v0, v16, v17 offset0:2 offset1:3
	ds_write2st64_b32 v0, v10, v11 offset0:4 offset1:5
	;; [unrolled: 1-line block ×3, first 2 shown]
	s_waitcnt lgkmcnt(14)
	ds_write2st64_b32 v0, v6, v7 offset0:8 offset1:9
	ds_write2st64_b32 v0, v8, v9 offset0:10 offset1:11
	;; [unrolled: 1-line block ×8, first 2 shown]
	s_waitcnt lgkmcnt(14)
	ds_write2st64_b32 v0, v26, v27 offset0:24 offset1:25
	ds_write2st64_b32 v0, v28, v29 offset0:26 offset1:27
	;; [unrolled: 1-line block ×16, first 2 shown]
	s_waitcnt lgkmcnt(14)
	ds_write2st64_b32 v0, v58, v59 offset0:56 offset1:57
	ds_write2st64_b32 v0, v60, v61 offset0:58 offset1:59
	;; [unrolled: 1-line block ×4, first 2 shown]
	; wave barrier
	ds_read_b128 v[14:17], v1
	ds_read_b128 v[10:13], v1 offset:16
	ds_read_b128 v[6:9], v1 offset:32
	;; [unrolled: 1-line block ×15, first 2 shown]
	s_add_i32 s0, s0, -1
	s_cmp_lg_u32 s0, 0
	; wave barrier
	s_cbranch_scc1 .LBB101_2
	s_branch .LBB101_4
.LBB101_3:
	v_mov_b32_e32 v67, v15
	v_pk_mov_b32 v[14:15], v[66:67], v[66:67] op_sel:[0,1]
.LBB101_4:
	s_load_dwordx2 s[0:1], s[4:5], 0x0
	v_lshl_or_b32 v0, s6, 14, v66
	v_mov_b32_e32 v1, 0
	v_lshlrev_b64 v[0:1], 2, v[0:1]
	s_waitcnt lgkmcnt(0)
	v_mov_b32_e32 v66, s1
	v_add_co_u32_e32 v0, vcc, s0, v0
	v_addc_co_u32_e32 v1, vcc, v66, v1, vcc
	global_store_dwordx4 v[0:1], v[14:17], off
	global_store_dwordx4 v[0:1], v[10:13], off offset:16
	global_store_dwordx4 v[0:1], v[6:9], off offset:32
	;; [unrolled: 1-line block ×15, first 2 shown]
	s_endpgm
	.section	.rodata,"a",@progbits
	.p2align	6, 0x0
	.amdhsa_kernel _Z20warp_exchange_kernelILj256ELj64ELj64EN6common18StripedToBlockedOpEiEvPT3_j
		.amdhsa_group_segment_fixed_size 65536
		.amdhsa_private_segment_fixed_size 0
		.amdhsa_kernarg_size 12
		.amdhsa_user_sgpr_count 6
		.amdhsa_user_sgpr_private_segment_buffer 1
		.amdhsa_user_sgpr_dispatch_ptr 0
		.amdhsa_user_sgpr_queue_ptr 0
		.amdhsa_user_sgpr_kernarg_segment_ptr 1
		.amdhsa_user_sgpr_dispatch_id 0
		.amdhsa_user_sgpr_flat_scratch_init 0
		.amdhsa_user_sgpr_kernarg_preload_length 0
		.amdhsa_user_sgpr_kernarg_preload_offset 0
		.amdhsa_user_sgpr_private_segment_size 0
		.amdhsa_uses_dynamic_stack 0
		.amdhsa_system_sgpr_private_segment_wavefront_offset 0
		.amdhsa_system_sgpr_workgroup_id_x 1
		.amdhsa_system_sgpr_workgroup_id_y 0
		.amdhsa_system_sgpr_workgroup_id_z 0
		.amdhsa_system_sgpr_workgroup_info 0
		.amdhsa_system_vgpr_workitem_id 0
		.amdhsa_next_free_vgpr 68
		.amdhsa_next_free_sgpr 7
		.amdhsa_accum_offset 68
		.amdhsa_reserve_vcc 1
		.amdhsa_reserve_flat_scratch 0
		.amdhsa_float_round_mode_32 0
		.amdhsa_float_round_mode_16_64 0
		.amdhsa_float_denorm_mode_32 3
		.amdhsa_float_denorm_mode_16_64 3
		.amdhsa_dx10_clamp 1
		.amdhsa_ieee_mode 1
		.amdhsa_fp16_overflow 0
		.amdhsa_tg_split 0
		.amdhsa_exception_fp_ieee_invalid_op 0
		.amdhsa_exception_fp_denorm_src 0
		.amdhsa_exception_fp_ieee_div_zero 0
		.amdhsa_exception_fp_ieee_overflow 0
		.amdhsa_exception_fp_ieee_underflow 0
		.amdhsa_exception_fp_ieee_inexact 0
		.amdhsa_exception_int_div_zero 0
	.end_amdhsa_kernel
	.section	.text._Z20warp_exchange_kernelILj256ELj64ELj64EN6common18StripedToBlockedOpEiEvPT3_j,"axG",@progbits,_Z20warp_exchange_kernelILj256ELj64ELj64EN6common18StripedToBlockedOpEiEvPT3_j,comdat
.Lfunc_end101:
	.size	_Z20warp_exchange_kernelILj256ELj64ELj64EN6common18StripedToBlockedOpEiEvPT3_j, .Lfunc_end101-_Z20warp_exchange_kernelILj256ELj64ELj64EN6common18StripedToBlockedOpEiEvPT3_j
                                        ; -- End function
	.section	.AMDGPU.csdata,"",@progbits
; Kernel info:
; codeLenInByte = 928
; NumSgprs: 11
; NumVgprs: 68
; NumAgprs: 0
; TotalNumVgprs: 68
; ScratchSize: 0
; MemoryBound: 0
; FloatMode: 240
; IeeeMode: 1
; LDSByteSize: 65536 bytes/workgroup (compile time only)
; SGPRBlocks: 1
; VGPRBlocks: 8
; NumSGPRsForWavesPerEU: 11
; NumVGPRsForWavesPerEU: 68
; AccumOffset: 68
; Occupancy: 1
; WaveLimiterHint : 0
; COMPUTE_PGM_RSRC2:SCRATCH_EN: 0
; COMPUTE_PGM_RSRC2:USER_SGPR: 6
; COMPUTE_PGM_RSRC2:TRAP_HANDLER: 0
; COMPUTE_PGM_RSRC2:TGID_X_EN: 1
; COMPUTE_PGM_RSRC2:TGID_Y_EN: 0
; COMPUTE_PGM_RSRC2:TGID_Z_EN: 0
; COMPUTE_PGM_RSRC2:TIDIG_COMP_CNT: 0
; COMPUTE_PGM_RSRC3_GFX90A:ACCUM_OFFSET: 16
; COMPUTE_PGM_RSRC3_GFX90A:TG_SPLIT: 0
	.section	.text._Z20warp_exchange_kernelILj256ELj1ELj64EN6common25BlockedToStripedShuffleOpEiEvPT3_j,"axG",@progbits,_Z20warp_exchange_kernelILj256ELj1ELj64EN6common25BlockedToStripedShuffleOpEiEvPT3_j,comdat
	.protected	_Z20warp_exchange_kernelILj256ELj1ELj64EN6common25BlockedToStripedShuffleOpEiEvPT3_j ; -- Begin function _Z20warp_exchange_kernelILj256ELj1ELj64EN6common25BlockedToStripedShuffleOpEiEvPT3_j
	.globl	_Z20warp_exchange_kernelILj256ELj1ELj64EN6common25BlockedToStripedShuffleOpEiEvPT3_j
	.p2align	8
	.type	_Z20warp_exchange_kernelILj256ELj1ELj64EN6common25BlockedToStripedShuffleOpEiEvPT3_j,@function
_Z20warp_exchange_kernelILj256ELj1ELj64EN6common25BlockedToStripedShuffleOpEiEvPT3_j: ; @_Z20warp_exchange_kernelILj256ELj1ELj64EN6common25BlockedToStripedShuffleOpEiEvPT3_j
; %bb.0:
	s_load_dword s0, s[4:5], 0x8
	s_waitcnt lgkmcnt(0)
	s_cmp_eq_u32 s0, 0
	s_cbranch_scc1 .LBB102_3
; %bb.1:
	v_mbcnt_lo_u32_b32 v1, -1, 0
	v_mbcnt_hi_u32_b32 v1, -1, v1
	v_lshlrev_b32_e32 v2, 2, v1
	v_mov_b32_e32 v1, v0
.LBB102_2:                              ; =>This Inner Loop Header: Depth=1
	s_waitcnt lgkmcnt(0)
	ds_bpermute_b32 v1, v2, v1
	s_add_i32 s0, s0, -1
	s_cmp_lg_u32 s0, 0
	; wave barrier
	s_cbranch_scc1 .LBB102_2
	s_branch .LBB102_4
.LBB102_3:
	v_mov_b32_e32 v1, v0
.LBB102_4:
	s_load_dwordx2 s[0:1], s[4:5], 0x0
	v_lshl_or_b32 v2, s6, 8, v0
	v_mov_b32_e32 v3, 0
	v_lshlrev_b64 v[2:3], 2, v[2:3]
	s_waitcnt lgkmcnt(0)
	v_mov_b32_e32 v0, s1
	v_add_co_u32_e32 v2, vcc, s0, v2
	v_addc_co_u32_e32 v3, vcc, v0, v3, vcc
	global_store_dword v[2:3], v1, off
	s_endpgm
	.section	.rodata,"a",@progbits
	.p2align	6, 0x0
	.amdhsa_kernel _Z20warp_exchange_kernelILj256ELj1ELj64EN6common25BlockedToStripedShuffleOpEiEvPT3_j
		.amdhsa_group_segment_fixed_size 0
		.amdhsa_private_segment_fixed_size 0
		.amdhsa_kernarg_size 12
		.amdhsa_user_sgpr_count 6
		.amdhsa_user_sgpr_private_segment_buffer 1
		.amdhsa_user_sgpr_dispatch_ptr 0
		.amdhsa_user_sgpr_queue_ptr 0
		.amdhsa_user_sgpr_kernarg_segment_ptr 1
		.amdhsa_user_sgpr_dispatch_id 0
		.amdhsa_user_sgpr_flat_scratch_init 0
		.amdhsa_user_sgpr_kernarg_preload_length 0
		.amdhsa_user_sgpr_kernarg_preload_offset 0
		.amdhsa_user_sgpr_private_segment_size 0
		.amdhsa_uses_dynamic_stack 0
		.amdhsa_system_sgpr_private_segment_wavefront_offset 0
		.amdhsa_system_sgpr_workgroup_id_x 1
		.amdhsa_system_sgpr_workgroup_id_y 0
		.amdhsa_system_sgpr_workgroup_id_z 0
		.amdhsa_system_sgpr_workgroup_info 0
		.amdhsa_system_vgpr_workitem_id 0
		.amdhsa_next_free_vgpr 4
		.amdhsa_next_free_sgpr 7
		.amdhsa_accum_offset 4
		.amdhsa_reserve_vcc 1
		.amdhsa_reserve_flat_scratch 0
		.amdhsa_float_round_mode_32 0
		.amdhsa_float_round_mode_16_64 0
		.amdhsa_float_denorm_mode_32 3
		.amdhsa_float_denorm_mode_16_64 3
		.amdhsa_dx10_clamp 1
		.amdhsa_ieee_mode 1
		.amdhsa_fp16_overflow 0
		.amdhsa_tg_split 0
		.amdhsa_exception_fp_ieee_invalid_op 0
		.amdhsa_exception_fp_denorm_src 0
		.amdhsa_exception_fp_ieee_div_zero 0
		.amdhsa_exception_fp_ieee_overflow 0
		.amdhsa_exception_fp_ieee_underflow 0
		.amdhsa_exception_fp_ieee_inexact 0
		.amdhsa_exception_int_div_zero 0
	.end_amdhsa_kernel
	.section	.text._Z20warp_exchange_kernelILj256ELj1ELj64EN6common25BlockedToStripedShuffleOpEiEvPT3_j,"axG",@progbits,_Z20warp_exchange_kernelILj256ELj1ELj64EN6common25BlockedToStripedShuffleOpEiEvPT3_j,comdat
.Lfunc_end102:
	.size	_Z20warp_exchange_kernelILj256ELj1ELj64EN6common25BlockedToStripedShuffleOpEiEvPT3_j, .Lfunc_end102-_Z20warp_exchange_kernelILj256ELj1ELj64EN6common25BlockedToStripedShuffleOpEiEvPT3_j
                                        ; -- End function
	.section	.AMDGPU.csdata,"",@progbits
; Kernel info:
; codeLenInByte = 132
; NumSgprs: 11
; NumVgprs: 4
; NumAgprs: 0
; TotalNumVgprs: 4
; ScratchSize: 0
; MemoryBound: 0
; FloatMode: 240
; IeeeMode: 1
; LDSByteSize: 0 bytes/workgroup (compile time only)
; SGPRBlocks: 1
; VGPRBlocks: 0
; NumSGPRsForWavesPerEU: 11
; NumVGPRsForWavesPerEU: 4
; AccumOffset: 4
; Occupancy: 8
; WaveLimiterHint : 0
; COMPUTE_PGM_RSRC2:SCRATCH_EN: 0
; COMPUTE_PGM_RSRC2:USER_SGPR: 6
; COMPUTE_PGM_RSRC2:TRAP_HANDLER: 0
; COMPUTE_PGM_RSRC2:TGID_X_EN: 1
; COMPUTE_PGM_RSRC2:TGID_Y_EN: 0
; COMPUTE_PGM_RSRC2:TGID_Z_EN: 0
; COMPUTE_PGM_RSRC2:TIDIG_COMP_CNT: 0
; COMPUTE_PGM_RSRC3_GFX90A:ACCUM_OFFSET: 0
; COMPUTE_PGM_RSRC3_GFX90A:TG_SPLIT: 0
	.section	.text._Z20warp_exchange_kernelILj256ELj4ELj64EN6common25BlockedToStripedShuffleOpEiEvPT3_j,"axG",@progbits,_Z20warp_exchange_kernelILj256ELj4ELj64EN6common25BlockedToStripedShuffleOpEiEvPT3_j,comdat
	.protected	_Z20warp_exchange_kernelILj256ELj4ELj64EN6common25BlockedToStripedShuffleOpEiEvPT3_j ; -- Begin function _Z20warp_exchange_kernelILj256ELj4ELj64EN6common25BlockedToStripedShuffleOpEiEvPT3_j
	.globl	_Z20warp_exchange_kernelILj256ELj4ELj64EN6common25BlockedToStripedShuffleOpEiEvPT3_j
	.p2align	8
	.type	_Z20warp_exchange_kernelILj256ELj4ELj64EN6common25BlockedToStripedShuffleOpEiEvPT3_j,@function
_Z20warp_exchange_kernelILj256ELj4ELj64EN6common25BlockedToStripedShuffleOpEiEvPT3_j: ; @_Z20warp_exchange_kernelILj256ELj4ELj64EN6common25BlockedToStripedShuffleOpEiEvPT3_j
; %bb.0:
	s_load_dword s7, s[4:5], 0x8
	v_lshlrev_b32_e32 v0, 2, v0
	v_or_b32_e32 v1, 1, v0
	v_or_b32_e32 v2, 2, v0
	;; [unrolled: 1-line block ×3, first 2 shown]
	s_waitcnt lgkmcnt(0)
	s_cmp_eq_u32 s7, 0
	s_cbranch_scc1 .LBB103_4
; %bb.1:
	v_mbcnt_lo_u32_b32 v4, -1, 0
	v_mbcnt_hi_u32_b32 v4, -1, v4
	v_lshrrev_b32_e32 v8, 2, v4
	v_and_b32_e32 v9, 64, v4
	v_and_b32_e32 v4, 3, v4
	v_cmp_eq_u32_e32 vcc, 3, v4
	v_cmp_eq_u32_e64 s[0:1], 2, v4
	v_cmp_eq_u32_e64 s[2:3], 1, v4
	v_or_b32_e32 v4, v8, v9
	v_lshlrev_b32_e32 v5, 2, v4
	v_add_u32_e32 v4, 48, v8
	v_and_or_b32 v4, v4, 63, v9
	v_add_u32_e32 v6, 64, v5
	v_or_b32_e32 v7, 0x80, v5
	v_lshlrev_b32_e32 v8, 2, v4
	v_mov_b32_e32 v4, v0
.LBB103_2:                              ; =>This Inner Loop Header: Depth=1
	v_mov_b32_e32 v9, v1
	v_mov_b32_e32 v10, v4
	ds_bpermute_b32 v1, v5, v4
	ds_bpermute_b32 v4, v5, v9
	;; [unrolled: 1-line block ×6, first 2 shown]
	s_waitcnt lgkmcnt(4)
	v_cndmask_b32_e64 v1, v1, v4, s[2:3]
	s_waitcnt lgkmcnt(3)
	v_cndmask_b32_e64 v1, v1, v11, s[0:1]
	ds_bpermute_b32 v4, v5, v3
	ds_bpermute_b32 v11, v6, v10
	;; [unrolled: 1-line block ×5, first 2 shown]
	s_waitcnt lgkmcnt(4)
	v_cndmask_b32_e32 v4, v1, v4, vcc
	s_waitcnt lgkmcnt(3)
	v_cndmask_b32_e64 v1, v11, v12, s[2:3]
	v_cndmask_b32_e64 v1, v1, v13, s[0:1]
	ds_bpermute_b32 v9, v8, v9
	v_cndmask_b32_e32 v1, v1, v14, vcc
	ds_bpermute_b32 v12, v7, v2
	ds_bpermute_b32 v14, v8, v2
	;; [unrolled: 1-line block ×4, first 2 shown]
	s_waitcnt lgkmcnt(6)
	v_cndmask_b32_e64 v11, v15, v16, s[2:3]
	s_waitcnt lgkmcnt(4)
	v_cndmask_b32_e64 v9, v10, v9, s[2:3]
	;; [unrolled: 2-line block ×4, first 2 shown]
	s_add_i32 s7, s7, -1
	s_waitcnt lgkmcnt(1)
	v_cndmask_b32_e32 v2, v2, v13, vcc
	s_waitcnt lgkmcnt(0)
	v_cndmask_b32_e32 v3, v9, v3, vcc
	s_cmp_lg_u32 s7, 0
	; wave barrier
	s_cbranch_scc1 .LBB103_2
; %bb.3:
	v_mov_b32_e32 v5, v1
	v_mov_b32_e32 v6, v2
	;; [unrolled: 1-line block ×3, first 2 shown]
	s_branch .LBB103_5
.LBB103_4:
	v_pk_mov_b32 v[6:7], v[2:3], v[2:3] op_sel:[0,1]
	v_pk_mov_b32 v[4:5], v[0:1], v[0:1] op_sel:[0,1]
.LBB103_5:
	s_load_dwordx2 s[0:1], s[4:5], 0x0
	v_lshl_or_b32 v0, s6, 10, v0
	v_mov_b32_e32 v1, 0
	v_lshlrev_b64 v[0:1], 2, v[0:1]
	s_waitcnt lgkmcnt(0)
	v_mov_b32_e32 v2, s1
	v_add_co_u32_e32 v0, vcc, s0, v0
	v_addc_co_u32_e32 v1, vcc, v2, v1, vcc
	global_store_dwordx4 v[0:1], v[4:7], off
	s_endpgm
	.section	.rodata,"a",@progbits
	.p2align	6, 0x0
	.amdhsa_kernel _Z20warp_exchange_kernelILj256ELj4ELj64EN6common25BlockedToStripedShuffleOpEiEvPT3_j
		.amdhsa_group_segment_fixed_size 0
		.amdhsa_private_segment_fixed_size 0
		.amdhsa_kernarg_size 12
		.amdhsa_user_sgpr_count 6
		.amdhsa_user_sgpr_private_segment_buffer 1
		.amdhsa_user_sgpr_dispatch_ptr 0
		.amdhsa_user_sgpr_queue_ptr 0
		.amdhsa_user_sgpr_kernarg_segment_ptr 1
		.amdhsa_user_sgpr_dispatch_id 0
		.amdhsa_user_sgpr_flat_scratch_init 0
		.amdhsa_user_sgpr_kernarg_preload_length 0
		.amdhsa_user_sgpr_kernarg_preload_offset 0
		.amdhsa_user_sgpr_private_segment_size 0
		.amdhsa_uses_dynamic_stack 0
		.amdhsa_system_sgpr_private_segment_wavefront_offset 0
		.amdhsa_system_sgpr_workgroup_id_x 1
		.amdhsa_system_sgpr_workgroup_id_y 0
		.amdhsa_system_sgpr_workgroup_id_z 0
		.amdhsa_system_sgpr_workgroup_info 0
		.amdhsa_system_vgpr_workitem_id 0
		.amdhsa_next_free_vgpr 17
		.amdhsa_next_free_sgpr 8
		.amdhsa_accum_offset 20
		.amdhsa_reserve_vcc 1
		.amdhsa_reserve_flat_scratch 0
		.amdhsa_float_round_mode_32 0
		.amdhsa_float_round_mode_16_64 0
		.amdhsa_float_denorm_mode_32 3
		.amdhsa_float_denorm_mode_16_64 3
		.amdhsa_dx10_clamp 1
		.amdhsa_ieee_mode 1
		.amdhsa_fp16_overflow 0
		.amdhsa_tg_split 0
		.amdhsa_exception_fp_ieee_invalid_op 0
		.amdhsa_exception_fp_denorm_src 0
		.amdhsa_exception_fp_ieee_div_zero 0
		.amdhsa_exception_fp_ieee_overflow 0
		.amdhsa_exception_fp_ieee_underflow 0
		.amdhsa_exception_fp_ieee_inexact 0
		.amdhsa_exception_int_div_zero 0
	.end_amdhsa_kernel
	.section	.text._Z20warp_exchange_kernelILj256ELj4ELj64EN6common25BlockedToStripedShuffleOpEiEvPT3_j,"axG",@progbits,_Z20warp_exchange_kernelILj256ELj4ELj64EN6common25BlockedToStripedShuffleOpEiEvPT3_j,comdat
.Lfunc_end103:
	.size	_Z20warp_exchange_kernelILj256ELj4ELj64EN6common25BlockedToStripedShuffleOpEiEvPT3_j, .Lfunc_end103-_Z20warp_exchange_kernelILj256ELj4ELj64EN6common25BlockedToStripedShuffleOpEiEvPT3_j
                                        ; -- End function
	.section	.AMDGPU.csdata,"",@progbits
; Kernel info:
; codeLenInByte = 480
; NumSgprs: 12
; NumVgprs: 17
; NumAgprs: 0
; TotalNumVgprs: 17
; ScratchSize: 0
; MemoryBound: 0
; FloatMode: 240
; IeeeMode: 1
; LDSByteSize: 0 bytes/workgroup (compile time only)
; SGPRBlocks: 1
; VGPRBlocks: 2
; NumSGPRsForWavesPerEU: 12
; NumVGPRsForWavesPerEU: 17
; AccumOffset: 20
; Occupancy: 8
; WaveLimiterHint : 0
; COMPUTE_PGM_RSRC2:SCRATCH_EN: 0
; COMPUTE_PGM_RSRC2:USER_SGPR: 6
; COMPUTE_PGM_RSRC2:TRAP_HANDLER: 0
; COMPUTE_PGM_RSRC2:TGID_X_EN: 1
; COMPUTE_PGM_RSRC2:TGID_Y_EN: 0
; COMPUTE_PGM_RSRC2:TGID_Z_EN: 0
; COMPUTE_PGM_RSRC2:TIDIG_COMP_CNT: 0
; COMPUTE_PGM_RSRC3_GFX90A:ACCUM_OFFSET: 4
; COMPUTE_PGM_RSRC3_GFX90A:TG_SPLIT: 0
	.section	.text._Z20warp_exchange_kernelILj256ELj16ELj64EN6common25BlockedToStripedShuffleOpEiEvPT3_j,"axG",@progbits,_Z20warp_exchange_kernelILj256ELj16ELj64EN6common25BlockedToStripedShuffleOpEiEvPT3_j,comdat
	.protected	_Z20warp_exchange_kernelILj256ELj16ELj64EN6common25BlockedToStripedShuffleOpEiEvPT3_j ; -- Begin function _Z20warp_exchange_kernelILj256ELj16ELj64EN6common25BlockedToStripedShuffleOpEiEvPT3_j
	.globl	_Z20warp_exchange_kernelILj256ELj16ELj64EN6common25BlockedToStripedShuffleOpEiEvPT3_j
	.p2align	8
	.type	_Z20warp_exchange_kernelILj256ELj16ELj64EN6common25BlockedToStripedShuffleOpEiEvPT3_j,@function
_Z20warp_exchange_kernelILj256ELj16ELj64EN6common25BlockedToStripedShuffleOpEiEvPT3_j: ; @_Z20warp_exchange_kernelILj256ELj16ELj64EN6common25BlockedToStripedShuffleOpEiEvPT3_j
; %bb.0:
	s_load_dword s7, s[4:5], 0x8
	v_lshlrev_b32_e32 v16, 4, v0
	v_or_b32_e32 v17, 1, v16
	v_or_b32_e32 v18, 2, v16
	;; [unrolled: 1-line block ×14, first 2 shown]
	s_waitcnt lgkmcnt(0)
	s_cmp_lg_u32 s7, 0
	v_or_b32_e32 v31, 15, v16
	s_cbranch_scc0 .LBB104_6
; %bb.1:
	v_mbcnt_lo_u32_b32 v0, -1, 0
	v_mbcnt_hi_u32_b32 v0, -1, v0
	v_and_b32_e32 v1, 3, v0
	v_add_u32_e32 v3, -1, v0
	v_xor_b32_e32 v35, 2, v1
	v_and_b32_e32 v34, 3, v3
	v_add_u32_e32 v3, 3, v35
	v_and_b32_e32 v36, 3, v3
	v_or_b32_e32 v37, 4, v3
	v_or_b32_e32 v38, 12, v3
	v_and_b32_e32 v3, 64, v0
	v_add_u32_e32 v4, 60, v0
	v_and_or_b32 v4, v4, 63, v3
	v_lshlrev_b32_e32 v39, 2, v4
	v_add_u32_e32 v4, 56, v0
	v_and_or_b32 v4, v4, 63, v3
	v_lshlrev_b32_e32 v40, 2, v4
	;; [unrolled: 3-line block ×7, first 2 shown]
	v_lshlrev_b32_e32 v4, 2, v0
	v_xor_b32_e32 v46, 0x80, v4
	v_add_u32_e32 v4, 28, v0
	v_and_or_b32 v4, v4, 63, v3
	v_lshlrev_b32_e32 v47, 2, v4
	v_add_u32_e32 v4, 24, v0
	v_and_or_b32 v4, v4, 63, v3
	v_lshlrev_b32_e32 v48, 2, v4
	;; [unrolled: 3-line block ×7, first 2 shown]
	v_lshrrev_b32_e32 v3, 2, v0
	v_bfe_u32 v54, v0, 2, 4
	v_add_u32_e32 v0, -1, v3
	v_and_b32_e32 v55, 15, v0
	v_add_u32_e32 v0, 14, v3
	v_and_b32_e32 v56, 15, v0
	v_add_u32_e32 v0, 13, v3
	;; [unrolled: 2-line block ×6, first 2 shown]
	v_xor_b32_e32 v62, 8, v54
	v_and_b32_e32 v61, 15, v0
	v_add_u32_e32 v0, -1, v62
	v_and_b32_e32 v63, 15, v0
	v_add_u32_e32 v0, 14, v62
	v_and_b32_e32 v64, 15, v0
	v_add_u32_e32 v0, 13, v62
	;; [unrolled: 2-line block ×5, first 2 shown]
	v_or_b32_e32 v2, 4, v1
	v_or_b32_e32 v32, 8, v1
	v_and_b32_e32 v68, 15, v0
	v_add_u32_e32 v0, 9, v62
	v_or_b32_e32 v33, 12, v1
	v_and_b32_e32 v69, 15, v0
	v_cmp_eq_u32_e32 vcc, 1, v1
	v_cmp_eq_u32_e64 s[0:1], 2, v1
	v_cmp_eq_u32_e64 s[2:3], 3, v1
	;; [unrolled: 1-line block ×36, first 2 shown]
	v_mov_b32_e32 v3, v31
	v_mov_b32_e32 v2, v30
	;; [unrolled: 1-line block ×16, first 2 shown]
	v_or_b32_e32 v70, 4, v34
	v_or_b32_e32 v71, 8, v34
	v_or_b32_e32 v72, 12, v34
	v_or_b32_e32 v73, 4, v35
	v_or_b32_e32 v74, 8, v35
	v_or_b32_e32 v75, 12, v35
	v_or_b32_e32 v76, 8, v36
.LBB104_2:                              ; =>This Inner Loop Header: Depth=1
	s_waitcnt lgkmcnt(14)
	v_mov_b32_dpp v9, v9 quad_perm:[3,0,1,2] row_mask:0xf bank_mask:0xf
	v_cmp_eq_u32_e64 s[78:79], 1, v33
	v_cndmask_b32_e64 v79, v8, v9, s[78:79]
	v_cmp_eq_u32_e64 s[78:79], 1, v34
	v_cndmask_b32_e64 v80, v8, v9, s[78:79]
	;; [unrolled: 2-line block ×12, first 2 shown]
	v_cmp_eq_u32_e64 s[78:79], 1, v38
	v_cndmask_b32_e32 v77, v8, v9, vcc
	v_cndmask_b32_e64 v78, v8, v9, s[30:31]
	v_cndmask_b32_e64 v84, v8, v9, s[62:63]
	;; [unrolled: 1-line block ×3, first 2 shown]
	s_waitcnt lgkmcnt(13)
	v_mov_b32_dpp v9, v10 quad_perm:[2,3,0,1] row_mask:0xf bank_mask:0xf
	v_cmp_eq_u32_e64 s[78:79], 2, v33
	v_cndmask_b32_e64 v79, v79, v9, s[78:79]
	v_cmp_eq_u32_e64 s[78:79], 2, v34
	v_cndmask_b32_e64 v80, v80, v9, s[78:79]
	;; [unrolled: 2-line block ×5, first 2 shown]
	v_cmp_eq_u32_e64 s[78:79], 2, v35
	s_waitcnt lgkmcnt(12)
	v_mov_b32_dpp v10, v11 quad_perm:[1,2,3,0] row_mask:0xf bank_mask:0xf
	v_cndmask_b32_e64 v11, v77, v9, s[0:1]
	v_cndmask_b32_e64 v77, v78, v9, s[34:35]
	;; [unrolled: 1-line block ×4, first 2 shown]
	v_cmp_eq_u32_e64 s[78:79], 2, v73
	v_cndmask_b32_e64 v85, v86, v9, s[78:79]
	v_cmp_eq_u32_e64 s[78:79], 2, v74
	v_cndmask_b32_e64 v86, v87, v9, s[78:79]
	;; [unrolled: 2-line block ×8, first 2 shown]
	v_cndmask_b32_e64 v11, v77, v10, s[36:37]
	v_cndmask_b32_e64 v77, v78, v10, s[66:67]
	;; [unrolled: 1-line block ×3, first 2 shown]
	v_cmp_eq_u32_e64 s[78:79], 3, v34
	v_cndmask_b32_e64 v79, v80, v10, s[78:79]
	v_cmp_eq_u32_e64 s[78:79], 3, v70
	v_cndmask_b32_e64 v80, v81, v10, s[78:79]
	;; [unrolled: 2-line block ×12, first 2 shown]
	v_cmp_eq_u32_e64 s[78:79], 4, v33
	s_waitcnt lgkmcnt(11)
	v_cndmask_b32_e64 v10, v11, v12, s[38:39]
	v_cndmask_b32_e64 v11, v77, v12, s[68:69]
	;; [unrolled: 1-line block ×3, first 2 shown]
	v_cmp_eq_u32_e64 s[78:79], 4, v34
	v_cndmask_b32_e64 v78, v79, v12, s[78:79]
	v_cmp_eq_u32_e64 s[78:79], 4, v70
	v_cndmask_b32_e64 v79, v80, v12, s[78:79]
	;; [unrolled: 2-line block ×12, first 2 shown]
	v_cndmask_b32_e64 v8, v8, v12, s[78:79]
	s_waitcnt lgkmcnt(10)
	v_mov_b32_dpp v12, v13 quad_perm:[3,0,1,2] row_mask:0xf bank_mask:0xf
	v_cmp_eq_u32_e64 s[78:79], 5, v33
	s_waitcnt lgkmcnt(9)
	v_mov_b32_dpp v13, v14 quad_perm:[2,3,0,1] row_mask:0xf bank_mask:0xf
	s_waitcnt lgkmcnt(8)
	v_mov_b32_dpp v14, v15 quad_perm:[1,2,3,0] row_mask:0xf bank_mask:0xf
	v_cndmask_b32_e64 v15, v77, v12, s[78:79]
	v_cmp_eq_u32_e64 s[78:79], 5, v34
	v_cndmask_b32_e64 v77, v78, v12, s[78:79]
	v_cmp_eq_u32_e64 s[78:79], 5, v70
	;; [unrolled: 2-line block ×13, first 2 shown]
	v_cndmask_b32_e64 v9, v9, v12, s[8:9]
	v_cndmask_b32_e64 v10, v10, v12, s[40:41]
	;; [unrolled: 1-line block ×4, first 2 shown]
	v_cmp_eq_u32_e64 s[78:79], 6, v34
	v_cndmask_b32_e64 v15, v77, v13, s[78:79]
	v_cmp_eq_u32_e64 s[78:79], 6, v70
	v_cndmask_b32_e64 v77, v78, v13, s[78:79]
	v_cmp_eq_u32_e64 s[78:79], 6, v71
	v_cndmask_b32_e64 v78, v79, v13, s[78:79]
	v_cmp_eq_u32_e64 s[78:79], 6, v72
	v_cndmask_b32_e64 v79, v80, v13, s[78:79]
	v_cmp_eq_u32_e64 s[78:79], 6, v35
	v_cndmask_b32_e64 v80, v81, v13, s[78:79]
	v_cmp_eq_u32_e64 s[78:79], 6, v73
	v_cndmask_b32_e64 v81, v82, v13, s[78:79]
	v_cmp_eq_u32_e64 s[78:79], 6, v74
	v_cndmask_b32_e64 v82, v83, v13, s[78:79]
	v_cmp_eq_u32_e64 s[78:79], 6, v75
	v_cndmask_b32_e64 v83, v84, v13, s[78:79]
	v_cmp_eq_u32_e64 s[78:79], 6, v36
	v_cndmask_b32_e64 v84, v85, v13, s[78:79]
	v_cmp_eq_u32_e64 s[78:79], 6, v37
	v_cndmask_b32_e64 v85, v86, v13, s[78:79]
	v_cmp_eq_u32_e64 s[78:79], 6, v76
	v_cndmask_b32_e64 v86, v87, v13, s[78:79]
	v_cmp_eq_u32_e64 s[78:79], 6, v38
	v_cndmask_b32_e64 v8, v8, v13, s[78:79]
	v_cmp_eq_u32_e64 s[78:79], 7, v33
	v_cndmask_b32_e64 v12, v12, v14, s[78:79]
	v_cmp_eq_u32_e64 s[78:79], 7, v34
	v_cndmask_b32_e64 v9, v9, v13, s[10:11]
	v_cndmask_b32_e64 v10, v10, v13, s[42:43]
	v_cndmask_b32_e64 v11, v11, v13, s[72:73]
	;; [unrolled: 1-line block ×3, first 2 shown]
	v_cmp_eq_u32_e64 s[78:79], 7, v70
	v_cndmask_b32_e64 v15, v77, v14, s[78:79]
	v_cmp_eq_u32_e64 s[78:79], 7, v71
	v_cndmask_b32_e64 v77, v78, v14, s[78:79]
	;; [unrolled: 2-line block ×11, first 2 shown]
	v_cndmask_b32_e64 v8, v8, v14, s[78:79]
	v_cmp_eq_u32_e64 s[78:79], 8, v32
	s_waitcnt lgkmcnt(7)
	v_cndmask_b32_e64 v11, v11, v4, s[78:79]
	v_cmp_eq_u32_e64 s[78:79], 8, v33
	v_cndmask_b32_e64 v12, v12, v4, s[78:79]
	v_cmp_eq_u32_e64 s[78:79], 8, v34
	;; [unrolled: 2-line block ×3, first 2 shown]
	v_cndmask_b32_e64 v9, v9, v14, s[12:13]
	v_cndmask_b32_e64 v10, v10, v14, s[44:45]
	;; [unrolled: 1-line block ×3, first 2 shown]
	v_cmp_eq_u32_e64 s[78:79], 8, v71
	v_cndmask_b32_e64 v15, v77, v4, s[78:79]
	v_cmp_eq_u32_e64 s[78:79], 8, v72
	v_cndmask_b32_e64 v77, v78, v4, s[78:79]
	;; [unrolled: 2-line block ×10, first 2 shown]
	v_cndmask_b32_e64 v10, v10, v4, s[46:47]
	v_cndmask_b32_e64 v4, v8, v4, s[78:79]
	s_waitcnt lgkmcnt(6)
	v_mov_b32_dpp v5, v5 quad_perm:[3,0,1,2] row_mask:0xf bank_mask:0xf
	v_cmp_eq_u32_e64 s[78:79], 9, v32
	v_cndmask_b32_e64 v8, v11, v5, s[78:79]
	v_cmp_eq_u32_e64 s[78:79], 9, v33
	s_waitcnt lgkmcnt(2)
	v_mov_b32_dpp v86, v1 quad_perm:[3,0,1,2] row_mask:0xf bank_mask:0xf
	v_cndmask_b32_e64 v1, v9, v5, s[16:17]
	v_cndmask_b32_e64 v9, v12, v5, s[78:79]
	v_cmp_eq_u32_e64 s[78:79], 9, v34
	v_mov_b32_dpp v85, v7 quad_perm:[1,2,3,0] row_mask:0xf bank_mask:0xf
	v_cndmask_b32_e64 v7, v10, v5, s[48:49]
	v_cndmask_b32_e64 v10, v13, v5, s[78:79]
	v_cmp_eq_u32_e64 s[78:79], 9, v70
	v_cndmask_b32_e64 v11, v14, v5, s[78:79]
	v_cmp_eq_u32_e64 s[78:79], 9, v71
	v_cndmask_b32_e64 v12, v15, v5, s[78:79]
	v_cmp_eq_u32_e64 s[78:79], 9, v72
	v_cndmask_b32_e64 v13, v77, v5, s[78:79]
	v_cmp_eq_u32_e64 s[78:79], 9, v35
	v_cndmask_b32_e64 v14, v78, v5, s[78:79]
	v_cmp_eq_u32_e64 s[78:79], 9, v73
	v_cndmask_b32_e64 v15, v79, v5, s[78:79]
	v_cmp_eq_u32_e64 s[78:79], 9, v74
	v_cndmask_b32_e64 v77, v80, v5, s[78:79]
	v_cmp_eq_u32_e64 s[78:79], 9, v75
	v_cndmask_b32_e64 v78, v81, v5, s[78:79]
	v_cmp_eq_u32_e64 s[78:79], 9, v36
	v_cndmask_b32_e64 v79, v82, v5, s[78:79]
	v_cmp_eq_u32_e64 s[78:79], 9, v37
	v_cndmask_b32_e64 v80, v83, v5, s[78:79]
	v_cmp_eq_u32_e64 s[78:79], 9, v76
	v_cndmask_b32_e64 v81, v84, v5, s[78:79]
	v_cmp_eq_u32_e64 s[78:79], 9, v38
	v_mov_b32_dpp v6, v6 quad_perm:[2,3,0,1] row_mask:0xf bank_mask:0xf
	v_cndmask_b32_e64 v4, v4, v5, s[78:79]
	v_cmp_eq_u32_e64 s[78:79], 10, v32
	v_cndmask_b32_e64 v5, v8, v6, s[78:79]
	v_cmp_eq_u32_e64 s[78:79], 10, v33
	s_waitcnt lgkmcnt(1)
	v_mov_b32_dpp v82, v2 quad_perm:[2,3,0,1] row_mask:0xf bank_mask:0xf
	v_cndmask_b32_e64 v2, v7, v6, s[50:51]
	v_cndmask_b32_e64 v7, v9, v6, s[78:79]
	v_cmp_eq_u32_e64 s[78:79], 10, v34
	v_cndmask_b32_e64 v8, v10, v6, s[78:79]
	v_cmp_eq_u32_e64 s[78:79], 10, v70
	;; [unrolled: 2-line block ×4, first 2 shown]
	v_cndmask_b32_e64 v1, v1, v6, s[18:19]
	v_cndmask_b32_e64 v84, v13, v6, s[78:79]
	v_cmp_eq_u32_e64 s[78:79], 10, v35
	v_cndmask_b32_e64 v87, v14, v6, s[78:79]
	v_cmp_eq_u32_e64 s[78:79], 10, v73
	v_cndmask_b32_e64 v1, v1, v85, s[20:21]
	v_cndmask_b32_e64 v15, v15, v6, s[78:79]
	v_cmp_eq_u32_e64 s[78:79], 10, v74
	v_cndmask_b32_e64 v1, v1, v0, s[22:23]
	;; [unrolled: 3-line block ×3, first 2 shown]
	v_cndmask_b32_e64 v78, v78, v6, s[78:79]
	v_cmp_eq_u32_e64 s[78:79], 10, v36
	s_waitcnt lgkmcnt(0)
	v_mov_b32_dpp v89, v3 quad_perm:[1,2,3,0] row_mask:0xf bank_mask:0xf
	v_cndmask_b32_e64 v1, v1, v82, s[26:27]
	v_cndmask_b32_e64 v79, v79, v6, s[78:79]
	v_cmp_eq_u32_e64 s[78:79], 10, v37
	v_cndmask_b32_e64 v13, v1, v89, s[28:29]
	v_cndmask_b32_e64 v1, v2, v85, s[52:53]
	;; [unrolled: 1-line block ×3, first 2 shown]
	v_cmp_eq_u32_e64 s[78:79], 10, v76
	v_cndmask_b32_e64 v1, v1, v0, s[54:55]
	v_cndmask_b32_e64 v81, v81, v6, s[78:79]
	v_cmp_eq_u32_e64 s[78:79], 10, v38
	v_cndmask_b32_e64 v1, v1, v86, s[56:57]
	v_cndmask_b32_e64 v88, v4, v6, s[78:79]
	;; [unrolled: 1-line block ×3, first 2 shown]
	v_cmp_eq_u32_e64 s[78:79], 11, v32
	v_cndmask_b32_e64 v90, v1, v89, s[60:61]
	v_cndmask_b32_e64 v1, v5, v85, s[78:79]
	v_cmp_eq_u32_e64 s[78:79], 12, v32
	v_cndmask_b32_e64 v1, v1, v0, s[78:79]
	v_cmp_eq_u32_e64 s[78:79], 13, v32
	;; [unrolled: 2-line block ×66, first 2 shown]
	v_cndmask_b32_e64 v0, v15, v0, s[78:79]
	ds_bpermute_b32 v15, v39, v90
	v_cmp_eq_u32_e64 s[78:79], 13, v38
	v_cndmask_b32_e64 v0, v0, v86, s[78:79]
	v_cmp_eq_u32_e64 s[78:79], 14, v38
	v_cndmask_b32_e64 v0, v0, v82, s[78:79]
	;; [unrolled: 2-line block ×3, first 2 shown]
	v_cmp_eq_u32_e64 s[78:79], 1, v54
	s_waitcnt lgkmcnt(0)
	v_cndmask_b32_e64 v77, v13, v15, s[78:79]
	v_cmp_eq_u32_e64 s[78:79], 1, v55
	v_cndmask_b32_e64 v78, v13, v15, s[78:79]
	v_cmp_eq_u32_e64 s[78:79], 1, v56
	;; [unrolled: 2-line block ×12, first 2 shown]
	ds_bpermute_b32 v14, v40, v14
	v_cndmask_b32_e64 v89, v13, v15, s[78:79]
	v_cmp_eq_u32_e64 s[78:79], 1, v67
	v_cndmask_b32_e64 v90, v13, v15, s[78:79]
	v_cmp_eq_u32_e64 s[78:79], 1, v68
	;; [unrolled: 2-line block ×4, first 2 shown]
	s_waitcnt lgkmcnt(0)
	v_cndmask_b32_e64 v15, v77, v14, s[78:79]
	v_cmp_eq_u32_e64 s[78:79], 2, v55
	v_cndmask_b32_e64 v77, v78, v14, s[78:79]
	v_cmp_eq_u32_e64 s[78:79], 2, v56
	;; [unrolled: 2-line block ×12, first 2 shown]
	ds_bpermute_b32 v12, v41, v12
	v_cndmask_b32_e64 v88, v89, v14, s[78:79]
	v_cmp_eq_u32_e64 s[78:79], 2, v67
	v_cndmask_b32_e64 v89, v90, v14, s[78:79]
	v_cmp_eq_u32_e64 s[78:79], 2, v68
	v_cndmask_b32_e64 v90, v91, v14, s[78:79]
	v_cmp_eq_u32_e64 s[78:79], 2, v69
	v_cndmask_b32_e64 v13, v13, v14, s[78:79]
	v_cmp_eq_u32_e64 s[78:79], 3, v54
	s_waitcnt lgkmcnt(0)
	v_cndmask_b32_e64 v14, v15, v12, s[78:79]
	v_cmp_eq_u32_e64 s[78:79], 3, v55
	v_cndmask_b32_e64 v15, v77, v12, s[78:79]
	v_cmp_eq_u32_e64 s[78:79], 3, v56
	v_cndmask_b32_e64 v77, v78, v12, s[78:79]
	v_cmp_eq_u32_e64 s[78:79], 3, v57
	v_cndmask_b32_e64 v78, v79, v12, s[78:79]
	v_cmp_eq_u32_e64 s[78:79], 3, v58
	v_cndmask_b32_e64 v79, v80, v12, s[78:79]
	v_cmp_eq_u32_e64 s[78:79], 3, v59
	v_cndmask_b32_e64 v80, v81, v12, s[78:79]
	v_cmp_eq_u32_e64 s[78:79], 3, v60
	v_cndmask_b32_e64 v81, v82, v12, s[78:79]
	v_cmp_eq_u32_e64 s[78:79], 3, v61
	v_cndmask_b32_e64 v82, v83, v12, s[78:79]
	v_cmp_eq_u32_e64 s[78:79], 3, v62
	v_cndmask_b32_e64 v83, v84, v12, s[78:79]
	v_cmp_eq_u32_e64 s[78:79], 3, v63
	v_cndmask_b32_e64 v84, v85, v12, s[78:79]
	v_cmp_eq_u32_e64 s[78:79], 3, v64
	v_cndmask_b32_e64 v85, v86, v12, s[78:79]
	v_cmp_eq_u32_e64 s[78:79], 3, v65
	v_mov_b32_dpp v11, v11 quad_perm:[1,2,3,0] row_mask:0xf bank_mask:0xf
	v_cndmask_b32_e64 v86, v87, v12, s[78:79]
	v_cmp_eq_u32_e64 s[78:79], 3, v66
	ds_bpermute_b32 v11, v42, v11
	v_cndmask_b32_e64 v87, v88, v12, s[78:79]
	v_cmp_eq_u32_e64 s[78:79], 3, v67
	v_cndmask_b32_e64 v88, v89, v12, s[78:79]
	v_cmp_eq_u32_e64 s[78:79], 3, v68
	v_cndmask_b32_e64 v89, v90, v12, s[78:79]
	v_cmp_eq_u32_e64 s[78:79], 3, v69
	v_cndmask_b32_e64 v12, v13, v12, s[78:79]
	v_cmp_eq_u32_e64 s[78:79], 4, v54
	s_waitcnt lgkmcnt(0)
	v_cndmask_b32_e64 v13, v14, v11, s[78:79]
	v_cmp_eq_u32_e64 s[78:79], 4, v55
	v_cndmask_b32_e64 v14, v15, v11, s[78:79]
	v_cmp_eq_u32_e64 s[78:79], 4, v56
	v_cndmask_b32_e64 v15, v77, v11, s[78:79]
	v_cmp_eq_u32_e64 s[78:79], 4, v57
	v_cndmask_b32_e64 v77, v78, v11, s[78:79]
	v_cmp_eq_u32_e64 s[78:79], 4, v58
	v_cndmask_b32_e64 v78, v79, v11, s[78:79]
	v_cmp_eq_u32_e64 s[78:79], 4, v59
	v_cndmask_b32_e64 v79, v80, v11, s[78:79]
	v_cmp_eq_u32_e64 s[78:79], 4, v60
	v_cndmask_b32_e64 v80, v81, v11, s[78:79]
	v_cmp_eq_u32_e64 s[78:79], 4, v61
	v_cndmask_b32_e64 v81, v82, v11, s[78:79]
	v_cmp_eq_u32_e64 s[78:79], 4, v62
	v_cndmask_b32_e64 v82, v83, v11, s[78:79]
	v_cmp_eq_u32_e64 s[78:79], 4, v63
	v_cndmask_b32_e64 v83, v84, v11, s[78:79]
	v_cmp_eq_u32_e64 s[78:79], 4, v64
	v_cndmask_b32_e64 v84, v85, v11, s[78:79]
	v_cmp_eq_u32_e64 s[78:79], 4, v65
	v_mov_b32_dpp v10, v10 quad_perm:[1,2,3,0] row_mask:0xf bank_mask:0xf
	v_cndmask_b32_e64 v85, v86, v11, s[78:79]
	v_cmp_eq_u32_e64 s[78:79], 4, v66
	;; [unrolled: 35-line block ×5, first 2 shown]
	v_mov_b32_dpp v2, v2 quad_perm:[2,3,0,1] row_mask:0xf bank_mask:0xf
	ds_bpermute_b32 v1, v46, v1
	v_cndmask_b32_e64 v83, v84, v5, s[78:79]
	v_cmp_eq_u32_e64 s[78:79], 7, v67
	v_mov_b32_dpp v3, v3 quad_perm:[2,3,0,1] row_mask:0xf bank_mask:0xf
	ds_bpermute_b32 v2, v47, v2
	v_cndmask_b32_e64 v84, v85, v5, s[78:79]
	v_cmp_eq_u32_e64 s[78:79], 7, v68
	v_mov_b32_dpp v4, v4 quad_perm:[2,3,0,1] row_mask:0xf bank_mask:0xf
	ds_bpermute_b32 v3, v48, v3
	v_cndmask_b32_e64 v85, v86, v5, s[78:79]
	v_cmp_eq_u32_e64 s[78:79], 7, v69
	v_mov_b32_dpp v6, v6 quad_perm:[3,0,1,2] row_mask:0xf bank_mask:0xf
	ds_bpermute_b32 v4, v49, v4
	v_cndmask_b32_e64 v5, v9, v5, s[78:79]
	v_mov_b32_dpp v7, v7 quad_perm:[3,0,1,2] row_mask:0xf bank_mask:0xf
	v_mov_b32_dpp v8, v8 quad_perm:[3,0,1,2] row_mask:0xf bank_mask:0xf
	ds_bpermute_b32 v6, v50, v6
	v_cmp_eq_u32_e64 s[78:79], 8, v54
	ds_bpermute_b32 v7, v51, v7
	ds_bpermute_b32 v9, v52, v8
	s_waitcnt lgkmcnt(6)
	v_cndmask_b32_e64 v8, v10, v1, s[78:79]
	v_cmp_eq_u32_e64 s[78:79], 9, v54
	s_waitcnt lgkmcnt(5)
	v_cndmask_b32_e64 v8, v8, v2, s[78:79]
	v_cmp_eq_u32_e64 s[78:79], 10, v54
	s_waitcnt lgkmcnt(4)
	v_cndmask_b32_e64 v8, v8, v3, s[78:79]
	v_cmp_eq_u32_e64 s[78:79], 11, v54
	s_waitcnt lgkmcnt(3)
	v_cndmask_b32_e64 v8, v8, v4, s[78:79]
	v_cmp_eq_u32_e64 s[78:79], 12, v54
	s_waitcnt lgkmcnt(2)
	v_cndmask_b32_e64 v8, v8, v6, s[78:79]
	v_cmp_eq_u32_e64 s[78:79], 13, v54
	s_waitcnt lgkmcnt(1)
	v_cndmask_b32_e64 v8, v8, v7, s[78:79]
	v_cmp_eq_u32_e64 s[78:79], 14, v54
	s_waitcnt lgkmcnt(0)
	v_cndmask_b32_e64 v8, v8, v9, s[78:79]
	v_cmp_eq_u32_e64 s[78:79], 8, v55
	v_cndmask_b32_e64 v10, v11, v1, s[78:79]
	v_cmp_eq_u32_e64 s[78:79], 9, v55
	v_cndmask_b32_e64 v10, v10, v2, s[78:79]
	v_cmp_eq_u32_e64 s[78:79], 10, v55
	;; [unrolled: 2-line block ×39, first 2 shown]
	v_mov_b32_dpp v0, v0 quad_perm:[3,0,1,2] row_mask:0xf bank_mask:0xf
	v_cndmask_b32_e64 v84, v85, v1, s[78:79]
	v_cmp_eq_u32_e64 s[78:79], 9, v68
	ds_bpermute_b32 v0, v53, v0
	v_cndmask_b32_e64 v84, v84, v2, s[78:79]
	v_cmp_eq_u32_e64 s[78:79], 10, v68
	v_cndmask_b32_e64 v84, v84, v3, s[78:79]
	v_cmp_eq_u32_e64 s[78:79], 8, v69
	;; [unrolled: 2-line block ×5, first 2 shown]
	s_waitcnt lgkmcnt(0)
	v_cndmask_b32_e64 v8, v8, v0, s[78:79]
	v_cmp_eq_u32_e64 s[78:79], 11, v55
	v_cndmask_b32_e64 v2, v10, v4, s[78:79]
	v_cmp_eq_u32_e64 s[78:79], 12, v55
	;; [unrolled: 2-line block ×75, first 2 shown]
	v_cndmask_b32_e64 v84, v1, v0, s[78:79]
	ds_bpermute_b32 v9, v53, v2
	ds_bpermute_b32 v10, v52, v3
	;; [unrolled: 1-line block ×15, first 2 shown]
	s_add_i32 s7, s7, -1
	s_cmp_lg_u32 s7, 0
	; wave barrier
	s_cbranch_scc1 .LBB104_2
; %bb.3:
	s_branch .LBB104_5
.LBB104_4:
	s_waitcnt lgkmcnt(12)
	v_pk_mov_b32 v[10:11], v[18:19], v[18:19] op_sel:[0,1]
	s_waitcnt lgkmcnt(10)
	v_pk_mov_b32 v[12:13], v[20:21], v[20:21] op_sel:[0,1]
	;; [unrolled: 2-line block ×7, first 2 shown]
	v_pk_mov_b32 v[8:9], v[16:17], v[16:17] op_sel:[0,1]
.LBB104_5:
	s_load_dwordx2 s[0:1], s[4:5], 0x0
	v_lshl_or_b32 v16, s6, 12, v16
	v_mov_b32_e32 v17, 0
	v_lshlrev_b64 v[16:17], 2, v[16:17]
	s_waitcnt lgkmcnt(0)
	v_mov_b32_e32 v18, s1
	v_add_co_u32_e32 v16, vcc, s0, v16
	v_addc_co_u32_e32 v17, vcc, v18, v17, vcc
	global_store_dwordx4 v[16:17], v[8:11], off
	global_store_dwordx4 v[16:17], v[12:15], off offset:16
	global_store_dwordx4 v[16:17], v[4:7], off offset:32
	;; [unrolled: 1-line block ×3, first 2 shown]
	s_endpgm
.LBB104_6:
                                        ; implicit-def: $vgpr8_vgpr9
                                        ; implicit-def: $vgpr2_vgpr3
                                        ; implicit-def: $vgpr6_vgpr7
                                        ; implicit-def: $vgpr14_vgpr15
	s_cbranch_execnz .LBB104_4
	s_branch .LBB104_5
	.section	.rodata,"a",@progbits
	.p2align	6, 0x0
	.amdhsa_kernel _Z20warp_exchange_kernelILj256ELj16ELj64EN6common25BlockedToStripedShuffleOpEiEvPT3_j
		.amdhsa_group_segment_fixed_size 0
		.amdhsa_private_segment_fixed_size 0
		.amdhsa_kernarg_size 12
		.amdhsa_user_sgpr_count 6
		.amdhsa_user_sgpr_private_segment_buffer 1
		.amdhsa_user_sgpr_dispatch_ptr 0
		.amdhsa_user_sgpr_queue_ptr 0
		.amdhsa_user_sgpr_kernarg_segment_ptr 1
		.amdhsa_user_sgpr_dispatch_id 0
		.amdhsa_user_sgpr_flat_scratch_init 0
		.amdhsa_user_sgpr_kernarg_preload_length 0
		.amdhsa_user_sgpr_kernarg_preload_offset 0
		.amdhsa_user_sgpr_private_segment_size 0
		.amdhsa_uses_dynamic_stack 0
		.amdhsa_system_sgpr_private_segment_wavefront_offset 0
		.amdhsa_system_sgpr_workgroup_id_x 1
		.amdhsa_system_sgpr_workgroup_id_y 0
		.amdhsa_system_sgpr_workgroup_id_z 0
		.amdhsa_system_sgpr_workgroup_info 0
		.amdhsa_system_vgpr_workitem_id 0
		.amdhsa_next_free_vgpr 92
		.amdhsa_next_free_sgpr 80
		.amdhsa_accum_offset 92
		.amdhsa_reserve_vcc 1
		.amdhsa_reserve_flat_scratch 0
		.amdhsa_float_round_mode_32 0
		.amdhsa_float_round_mode_16_64 0
		.amdhsa_float_denorm_mode_32 3
		.amdhsa_float_denorm_mode_16_64 3
		.amdhsa_dx10_clamp 1
		.amdhsa_ieee_mode 1
		.amdhsa_fp16_overflow 0
		.amdhsa_tg_split 0
		.amdhsa_exception_fp_ieee_invalid_op 0
		.amdhsa_exception_fp_denorm_src 0
		.amdhsa_exception_fp_ieee_div_zero 0
		.amdhsa_exception_fp_ieee_overflow 0
		.amdhsa_exception_fp_ieee_underflow 0
		.amdhsa_exception_fp_ieee_inexact 0
		.amdhsa_exception_int_div_zero 0
	.end_amdhsa_kernel
	.section	.text._Z20warp_exchange_kernelILj256ELj16ELj64EN6common25BlockedToStripedShuffleOpEiEvPT3_j,"axG",@progbits,_Z20warp_exchange_kernelILj256ELj16ELj64EN6common25BlockedToStripedShuffleOpEiEvPT3_j,comdat
.Lfunc_end104:
	.size	_Z20warp_exchange_kernelILj256ELj16ELj64EN6common25BlockedToStripedShuffleOpEiEvPT3_j, .Lfunc_end104-_Z20warp_exchange_kernelILj256ELj16ELj64EN6common25BlockedToStripedShuffleOpEiEvPT3_j
                                        ; -- End function
	.section	.AMDGPU.csdata,"",@progbits
; Kernel info:
; codeLenInByte = 9012
; NumSgprs: 84
; NumVgprs: 92
; NumAgprs: 0
; TotalNumVgprs: 92
; ScratchSize: 0
; MemoryBound: 0
; FloatMode: 240
; IeeeMode: 1
; LDSByteSize: 0 bytes/workgroup (compile time only)
; SGPRBlocks: 10
; VGPRBlocks: 11
; NumSGPRsForWavesPerEU: 84
; NumVGPRsForWavesPerEU: 92
; AccumOffset: 92
; Occupancy: 5
; WaveLimiterHint : 0
; COMPUTE_PGM_RSRC2:SCRATCH_EN: 0
; COMPUTE_PGM_RSRC2:USER_SGPR: 6
; COMPUTE_PGM_RSRC2:TRAP_HANDLER: 0
; COMPUTE_PGM_RSRC2:TGID_X_EN: 1
; COMPUTE_PGM_RSRC2:TGID_Y_EN: 0
; COMPUTE_PGM_RSRC2:TGID_Z_EN: 0
; COMPUTE_PGM_RSRC2:TIDIG_COMP_CNT: 0
; COMPUTE_PGM_RSRC3_GFX90A:ACCUM_OFFSET: 22
; COMPUTE_PGM_RSRC3_GFX90A:TG_SPLIT: 0
	.section	.text._Z20warp_exchange_kernelILj256ELj64ELj64EN6common25BlockedToStripedShuffleOpEiEvPT3_j,"axG",@progbits,_Z20warp_exchange_kernelILj256ELj64ELj64EN6common25BlockedToStripedShuffleOpEiEvPT3_j,comdat
	.protected	_Z20warp_exchange_kernelILj256ELj64ELj64EN6common25BlockedToStripedShuffleOpEiEvPT3_j ; -- Begin function _Z20warp_exchange_kernelILj256ELj64ELj64EN6common25BlockedToStripedShuffleOpEiEvPT3_j
	.globl	_Z20warp_exchange_kernelILj256ELj64ELj64EN6common25BlockedToStripedShuffleOpEiEvPT3_j
	.p2align	8
	.type	_Z20warp_exchange_kernelILj256ELj64ELj64EN6common25BlockedToStripedShuffleOpEiEvPT3_j,@function
_Z20warp_exchange_kernelILj256ELj64ELj64EN6common25BlockedToStripedShuffleOpEiEvPT3_j: ; @_Z20warp_exchange_kernelILj256ELj64ELj64EN6common25BlockedToStripedShuffleOpEiEvPT3_j
; %bb.0:
	s_add_u32 s0, s0, s9
	s_load_dword s9, s[4:5], 0x8
	s_addc_u32 s1, s1, 0
	v_lshlrev_b32_e32 v64, 6, v0
	v_or_b32_e32 v65, 1, v64
	v_or_b32_e32 v3, 3, v64
	;; [unrolled: 1-line block ×62, first 2 shown]
	s_waitcnt lgkmcnt(0)
	s_cmp_eq_u32 s9, 0
	v_or_b32_e32 v26, 62, v64
	s_cbranch_scc1 .LBB105_4
; %bb.1:
	v_mbcnt_lo_u32_b32 v0, -1, 0
	v_mbcnt_hi_u32_b32 v0, -1, v0
	v_and_b32_e32 v66, 32, v0
	v_lshlrev_b32_e32 v1, 2, v66
	v_and_b32_e32 v68, 64, v0
	v_xor_b32_e32 v133, 0x80, v1
	v_xor_b32_e32 v1, 32, v0
	v_add_u32_e32 v68, 64, v68
	v_cmp_lt_i32_e32 vcc, v1, v68
	v_cndmask_b32_e32 v1, v0, v1, vcc
	v_and_b32_e32 v95, 16, v0
	v_and_b32_e32 v97, 8, v0
	;; [unrolled: 1-line block ×5, first 2 shown]
	v_mov_b32_e32 v68, 0x84
	v_cmp_eq_u32_e64 s[12:13], 0, v66
	v_mov_b32_e32 v69, 0x88
	v_mov_b32_e32 v71, 0x8c
	;; [unrolled: 1-line block ×8, first 2 shown]
	v_cmp_eq_u32_e64 s[14:15], 0, v95
	v_mov_b32_e32 v96, 0x80
	v_cmp_eq_u32_e64 s[10:11], 0, v97
	v_cmp_eq_u32_e64 s[16:17], 0, v98
	;; [unrolled: 1-line block ×3, first 2 shown]
	v_cmp_eq_u32_e32 vcc, 0, v0
	v_cndmask_b32_e64 v136, 4, v68, s[12:13]
	v_cndmask_b32_e64 v70, 8, v69, s[12:13]
	v_mov_b32_e32 v73, 0x90
	v_mov_b32_e32 v79, 0x9c
	;; [unrolled: 1-line block ×4, first 2 shown]
	v_cndmask_b32_e64 v115, v68, v89, s[14:15]
	v_cndmask_b32_e64 v116, v69, v90, s[14:15]
	;; [unrolled: 1-line block ×7, first 2 shown]
	v_cndmask_b32_e32 v242, v96, v68, vcc
	v_cndmask_b32_e64 v211, v68, v71, s[6:7]
	v_cndmask_b32_e32 v243, v69, v71, vcc
	v_mov_b32_e32 v68, 0xbc
	v_mov_b32_e32 v69, 0xdc
	v_cndmask_b32_e64 v74, 16, v73, s[12:13]
	v_mov_b32_e32 v80, 0xa0
	v_mov_b32_e32 v83, 0xac
	;; [unrolled: 1-line block ×7, first 2 shown]
	v_cndmask_b32_e64 v118, v73, v92, s[14:15]
	v_cndmask_b32_e64 v150, v73, v84, s[10:11]
	;; [unrolled: 1-line block ×5, first 2 shown]
	v_cndmask_b32_e32 v244, v73, v75, vcc
	v_cndmask_b32_e64 v213, v75, v79, s[6:7]
	v_cndmask_b32_e32 v245, v77, v79, vcc
	v_cndmask_b32_e64 v73, 28, v79, s[12:13]
	v_cndmask_b32_e64 v121, v79, v69, s[14:15]
	;; [unrolled: 1-line block ×3, first 2 shown]
	v_mov_b32_e32 v79, 0xe4
	v_cndmask_b32_e64 v72, 12, v71, s[12:13]
	v_cndmask_b32_e64 v78, 24, v77, s[12:13]
	v_mov_b32_e32 v93, 0xd4
	v_cndmask_b32_e64 v114, v96, v87, s[14:15]
	v_cndmask_b32_e64 v117, v71, v91, s[14:15]
	v_cndmask_b32_e64 v146, v96, v80, s[10:11]
	v_cndmask_b32_e64 v149, v71, v83, s[10:11]
	v_cndmask_b32_e64 v120, v77, v94, s[14:15]
	v_cndmask_b32_e64 v152, v77, v86, s[10:11]
	v_mov_b32_e32 v71, 0xe0
	v_cndmask_b32_e32 v246, v80, v81, vcc
	v_cndmask_b32_e64 v77, 36, v81, s[12:13]
	v_cndmask_b32_e64 v123, v81, v79, s[14:15]
	;; [unrolled: 1-line block ×4, first 2 shown]
	v_mov_b32_e32 v81, 0xe8
	v_mov_b32_e32 v96, 0xec
	;; [unrolled: 1-line block ×5, first 2 shown]
	v_bfrev_b32_e32 v104, 0.5
	v_cndmask_b32_e64 v76, 20, v75, s[12:13]
	v_mov_b32_e32 v88, 0x44
	v_cndmask_b32_e64 v119, v75, v93, s[14:15]
	v_cndmask_b32_e64 v151, v75, v85, s[10:11]
	;; [unrolled: 1-line block ×9, first 2 shown]
	v_cndmask_b32_e32 v247, v82, v83, vcc
	v_cndmask_b32_e64 v82, 44, v83, s[12:13]
	v_cndmask_b32_e64 v125, v83, v96, s[14:15]
	;; [unrolled: 1-line block ×6, first 2 shown]
	v_cndmask_b32_e32 v248, v84, v85, vcc
	v_cndmask_b32_e64 v84, 52, v85, s[12:13]
	v_cndmask_b32_e64 v127, v85, v102, s[14:15]
	;; [unrolled: 1-line block ×5, first 2 shown]
	v_cndmask_b32_e32 v249, v86, v68, vcc
	v_cndmask_b32_e64 v86, 60, v68, s[12:13]
	v_cndmask_b32_e64 v129, v68, v104, s[14:15]
	v_mov_b32_e32 v68, 0x48
	v_cndmask_b32_e64 v105, 64, v87, s[12:13]
	v_cndmask_b32_e64 v154, v87, v71, s[10:11]
	;; [unrolled: 1-line block ×4, first 2 shown]
	v_cndmask_b32_e32 v250, v87, v89, vcc
	v_cndmask_b32_e64 v87, v88, v89, s[12:13]
	v_cndmask_b32_e64 v155, v89, v79, s[10:11]
	;; [unrolled: 1-line block ×7, first 2 shown]
	v_cndmask_b32_e32 v251, v90, v91, vcc
	v_mov_b32_e32 v90, 0x4c
	v_cndmask_b32_e64 v106, v90, v91, s[12:13]
	v_cndmask_b32_e64 v157, v91, v96, s[10:11]
	;; [unrolled: 1-line block ×3, first 2 shown]
	v_mov_b32_e32 v91, 0x50
	v_cndmask_b32_e64 v107, v91, v92, s[12:13]
	v_cndmask_b32_e64 v158, v92, v101, s[10:11]
	;; [unrolled: 1-line block ×3, first 2 shown]
	v_cndmask_b32_e32 v252, v92, v93, vcc
	v_mov_b32_e32 v92, 0x54
	v_cndmask_b32_e64 v108, v92, v93, s[12:13]
	v_cndmask_b32_e64 v159, v93, v102, s[10:11]
	;; [unrolled: 1-line block ×3, first 2 shown]
	v_mov_b32_e32 v93, 0x58
	v_cndmask_b32_e64 v109, v93, v94, s[12:13]
	v_cndmask_b32_e64 v160, v94, v103, s[10:11]
	v_cndmask_b32_e32 v253, v94, v69, vcc
	v_mov_b32_e32 v94, 0x5c
	v_cndmask_b32_e64 v110, v94, v69, s[12:13]
	v_cndmask_b32_e64 v161, v69, v104, s[10:11]
	v_mov_b32_e32 v69, 0x60
	v_cndmask_b32_e64 v111, v69, v71, s[12:13]
	v_cndmask_b32_e64 v190, v71, v101, s[16:17]
	;; [unrolled: 1-line block ×3, first 2 shown]
	v_cndmask_b32_e32 v254, v71, v79, vcc
	v_mov_b32_e32 v71, 0x64
	v_cndmask_b32_e64 v112, v71, v79, s[12:13]
	v_cndmask_b32_e64 v191, v79, v102, s[16:17]
	;; [unrolled: 1-line block ×3, first 2 shown]
	v_mov_b32_e32 v79, 0x68
	v_lshlrev_b32_e32 v0, 2, v0
	v_cndmask_b32_e64 v113, v79, v81, s[12:13]
	v_cndmask_b32_e64 v192, v81, v103, s[16:17]
	v_cndmask_b32_e32 v255, v81, v96, vcc
	v_mov_b32_e32 v81, 0x6c
	v_xor_b32_e32 v0, 4, v0
	v_cndmask_b32_e64 v130, v81, v96, s[12:13]
	v_cndmask_b32_e64 v193, v96, v104, s[16:17]
	v_mov_b32_e32 v96, 0x70
	v_or_b32_e32 v226, 0, v0
	v_cndmask_b32_e64 v0, 16, 20, vcc
	v_cndmask_b32_e64 v132, v96, v101, s[12:13]
	v_cndmask_b32_e64 v224, v101, v103, s[6:7]
	v_cndmask_b32_e32 v66, v101, v102, vcc
	v_mov_b32_e32 v101, 0x74
	v_add_u32_e32 v228, 0, v0
	v_cndmask_b32_e64 v0, 24, 28, vcc
	v_cndmask_b32_e64 v134, v101, v102, s[12:13]
	v_cndmask_b32_e64 v225, v102, v104, s[6:7]
	v_mov_b32_e32 v102, 0x78
	v_lshlrev_b32_e32 v95, 2, v95
	v_cndmask_b32_e64 v139, 32, v69, s[14:15]
	v_cndmask_b32_e64 v140, 64, v69, s[10:11]
	;; [unrolled: 1-line block ×4, first 2 shown]
	v_cndmask_b32_e32 v238, v69, v71, vcc
	v_lshlrev_b32_e32 v69, 2, v98
	v_add_u32_e32 v229, 0, v0
	v_cndmask_b32_e64 v0, 32, 36, vcc
	v_cndmask_b32_e64 v135, v102, v103, s[12:13]
	v_cndmask_b32_e32 v67, v103, v104, vcc
	v_mov_b32_e32 v103, 0x7c
	v_xor_b32_e32 v137, 64, v95
	v_lshlrev_b32_e32 v95, 2, v97
	v_cndmask_b32_e64 v144, v68, v79, s[10:11]
	v_xor_b32_e32 v172, 16, v69
	v_cndmask_b32_e64 v197, v68, v93, s[16:17]
	v_lshlrev_b32_e32 v69, 2, v100
	v_cndmask_b32_e64 v100, 8, v68, s[14:15]
	v_cndmask_b32_e64 v202, 64, v68, s[6:7]
	v_cndmask_b32_e32 v235, v68, v90, vcc
	v_add_u32_e32 v68, 0, v133
	v_add_u32_e32 v230, 0, v0
	v_cndmask_b32_e64 v0, 40, 44, vcc
	v_cndmask_b32_e64 v104, v103, v104, s[12:13]
	v_xor_b32_e32 v138, 32, v95
	v_cndmask_b32_e64 v141, 36, v71, s[14:15]
	v_cndmask_b32_e64 v142, v88, v71, s[10:11]
	;; [unrolled: 1-line block ×18, first 2 shown]
	v_xor_b32_e32 v200, 8, v69
	v_accvgpr_write_b32 a0, v68
	v_add_u32_e32 v68, 0, v136
	v_add_u32_e32 v231, 0, v0
	v_cndmask_b32_e64 v0, 48, 52, vcc
	v_cndmask_b32_e64 v99, 4, v88, s[14:15]
	v_cndmask_b32_e64 v131, 4, 36, s[10:11]
	;; [unrolled: 1-line block ×4, first 2 shown]
	v_cndmask_b32_e64 v227, 8, 12, vcc
	v_cndmask_b32_e64 v175, v71, v101, s[16:17]
	v_cndmask_b32_e64 v207, v71, v81, s[6:7]
	;; [unrolled: 1-line block ×3, first 2 shown]
	v_cndmask_b32_e32 v239, v79, v81, vcc
	v_cndmask_b32_e64 v177, v81, v103, s[16:17]
	v_cndmask_b32_e64 v208, v96, v102, s[6:7]
	v_cndmask_b32_e32 v240, v96, v101, vcc
	v_cndmask_b32_e64 v209, v101, v103, s[6:7]
	v_cndmask_b32_e32 v241, v102, v103, vcc
	v_cndmask_b32_e64 v102, 16, v91, s[14:15]
	v_cndmask_b32_e64 v204, v91, v93, s[6:7]
	v_cndmask_b32_e32 v236, v91, v92, vcc
	v_cndmask_b32_e64 v103, 20, v92, s[14:15]
	v_cndmask_b32_e64 v205, v92, v94, s[6:7]
	v_cndmask_b32_e32 v237, v93, v94, vcc
	v_cndmask_b32_e64 v101, 12, v90, s[14:15]
	v_cndmask_b32_e64 v203, v88, v90, s[6:7]
	v_cndmask_b32_e32 v234, 64, v88, vcc
	v_accvgpr_write_b32 a1, v68
	v_add_u32_e32 v68, 0, v70
	v_add_u32_e32 v69, 0, v72
	;; [unrolled: 1-line block ×41, first 2 shown]
	v_cndmask_b32_e64 v132, 8, 40, s[10:11]
	v_cndmask_b32_e64 v133, 12, 44, s[10:11]
	;; [unrolled: 1-line block ×6, first 2 shown]
	v_add_u32_e32 v138, 0, v140
	v_add_u32_e32 v139, 0, v142
	;; [unrolled: 1-line block ×9, first 2 shown]
	v_cndmask_b32_e64 v164, 8, 24, s[16:17]
	v_cndmask_b32_e64 v165, 12, 28, s[16:17]
	;; [unrolled: 1-line block ×6, first 2 shown]
	v_add_u32_e32 v170, 0, v173
	v_add_u32_e32 v171, 0, v194
	;; [unrolled: 1-line block ×4, first 2 shown]
	v_or_b32_e32 v194, 0, v200
	v_cndmask_b32_e64 v196, 16, 24, s[6:7]
	v_cndmask_b32_e64 v197, 20, 28, s[6:7]
	;; [unrolled: 1-line block ×6, first 2 shown]
	v_add_u32_e32 v232, 0, v0
	v_cndmask_b32_e64 v0, 56, 60, vcc
	v_lshlrev_b32_e32 v1, 2, v1
	v_accvgpr_write_b32 a2, v68
	v_add_u32_e32 v73, 0, v73
	v_add_u32_e32 v99, 0, v99
	;; [unrolled: 1-line block ×72, first 2 shown]
	v_or_b32_e32 v195, 0, v195
	v_add_u32_e32 v196, 0, v196
	v_add_u32_e32 v197, 0, v197
	;; [unrolled: 1-line block ×30, first 2 shown]
	v_or_b32_e32 v227, 0, v227
	v_add_u32_e32 v233, 0, v0
	v_add_u32_e32 v234, 0, v234
	;; [unrolled: 1-line block ×25, first 2 shown]
	v_mov_b32_e32 v0, v64
.LBB105_2:                              ; =>This Inner Loop Header: Depth=1
	buffer_store_dword v0, off, s[0:3], 0
	buffer_store_dword v3, off, s[0:3], 0 offset:12
	buffer_store_dword v2, off, s[0:3], 0 offset:8
	;; [unrolled: 1-line block ×32, first 2 shown]
	s_waitcnt vmcnt(62)
	buffer_store_dword v52, off, s[0:3], 0 offset:128
	v_accvgpr_read_b32 v2, a0
	buffer_load_dword v0, v2, s[0:3], 0 offen
	s_add_i32 s9, s9, -1
	s_cmp_lg_u32 s9, 0
	s_waitcnt vmcnt(0)
	ds_bpermute_b32 v0, v1, v0
	s_waitcnt lgkmcnt(0)
	buffer_store_dword v0, v2, s[0:3], 0 offen
	v_accvgpr_read_b32 v2, a1
	buffer_load_dword v0, v2, s[0:3], 0 offen
	s_nop 0
	buffer_store_dword v55, off, s[0:3], 0 offset:140
	buffer_store_dword v54, off, s[0:3], 0 offset:136
	s_waitcnt vmcnt(2)
	ds_bpermute_b32 v0, v1, v0
	s_waitcnt lgkmcnt(0)
	buffer_store_dword v0, v2, s[0:3], 0 offen
	v_accvgpr_read_b32 v2, a2
	buffer_load_dword v0, v2, s[0:3], 0 offen
	s_waitcnt vmcnt(0)
	ds_bpermute_b32 v0, v1, v0
	s_waitcnt lgkmcnt(0)
	buffer_store_dword v0, v2, s[0:3], 0 offen
	buffer_load_dword v0, v69, s[0:3], 0 offen
	s_nop 0
	buffer_store_dword v44, off, s[0:3], 0 offset:144
	buffer_store_dword v45, off, s[0:3], 0 offset:148
	s_waitcnt vmcnt(2)
	ds_bpermute_b32 v0, v1, v0
	s_waitcnt lgkmcnt(0)
	buffer_store_dword v0, v69, s[0:3], 0 offen
	buffer_load_dword v0, v70, s[0:3], 0 offen
	s_waitcnt vmcnt(0)
	ds_bpermute_b32 v0, v1, v0
	s_waitcnt lgkmcnt(0)
	buffer_store_dword v0, v70, s[0:3], 0 offen
	buffer_load_dword v0, v71, s[0:3], 0 offen
	s_nop 0
	buffer_store_dword v46, off, s[0:3], 0 offset:152
	buffer_store_dword v47, off, s[0:3], 0 offset:156
	s_waitcnt vmcnt(2)
	ds_bpermute_b32 v0, v1, v0
	s_waitcnt lgkmcnt(0)
	buffer_store_dword v0, v71, s[0:3], 0 offen
	;; [unrolled: 13-line block ×7, first 2 shown]
	buffer_load_dword v0, v82, s[0:3], 0 offen
	s_nop 0
	buffer_store_dword v51, off, s[0:3], 0 offset:204
	buffer_store_dword v50, off, s[0:3], 0 offset:200
	;; [unrolled: 1-line block ×14, first 2 shown]
	s_waitcnt vmcnt(14)
	ds_bpermute_b32 v0, v1, v0
	s_waitcnt lgkmcnt(0)
	buffer_store_dword v0, v82, s[0:3], 0 offen
	buffer_load_dword v0, v83, s[0:3], 0 offen
	s_nop 0
	buffer_load_dword v2, v98, s[0:3], 0 offen
	s_waitcnt vmcnt(1)
	ds_bpermute_b32 v0, v1, v0
	s_waitcnt vmcnt(0)
	ds_swizzle_b32 v2, v2 offset:swizzle(SWAP,16)
	s_waitcnt lgkmcnt(1)
	buffer_store_dword v0, v83, s[0:3], 0 offen
	s_waitcnt lgkmcnt(0)
	buffer_store_dword v2, v98, s[0:3], 0 offen
	buffer_load_dword v0, v84, s[0:3], 0 offen
	s_nop 0
	buffer_load_dword v2, v99, s[0:3], 0 offen
	s_waitcnt vmcnt(1)
	ds_bpermute_b32 v0, v1, v0
	s_waitcnt vmcnt(0)
	ds_swizzle_b32 v2, v2 offset:swizzle(SWAP,16)
	s_waitcnt lgkmcnt(1)
	buffer_store_dword v0, v84, s[0:3], 0 offen
	;; [unrolled: 11-line block ×9, first 2 shown]
	s_waitcnt lgkmcnt(0)
	buffer_store_dword v2, v106, s[0:3], 0 offen
	buffer_load_dword v0, v92, s[0:3], 0 offen
	s_nop 0
	buffer_load_dword v2, v107, s[0:3], 0 offen
	buffer_load_dword v3, v130, s[0:3], 0 offen
	s_waitcnt vmcnt(2)
	ds_bpermute_b32 v0, v1, v0
	s_waitcnt vmcnt(1)
	ds_swizzle_b32 v2, v2 offset:swizzle(SWAP,16)
	s_waitcnt vmcnt(0)
	ds_swizzle_b32 v3, v3 offset:swizzle(SWAP,8)
	s_waitcnt lgkmcnt(2)
	buffer_store_dword v0, v92, s[0:3], 0 offen
	s_waitcnt lgkmcnt(1)
	buffer_store_dword v2, v107, s[0:3], 0 offen
	s_waitcnt lgkmcnt(0)
	buffer_store_dword v3, v130, s[0:3], 0 offen
	buffer_load_dword v0, v93, s[0:3], 0 offen
	buffer_load_dword v2, v108, s[0:3], 0 offen
	s_nop 0
	buffer_load_dword v3, v131, s[0:3], 0 offen
	s_waitcnt vmcnt(2)
	ds_bpermute_b32 v0, v1, v0
	s_waitcnt vmcnt(1)
	ds_swizzle_b32 v2, v2 offset:swizzle(SWAP,16)
	s_waitcnt vmcnt(0)
	ds_swizzle_b32 v3, v3 offset:swizzle(SWAP,8)
	s_waitcnt lgkmcnt(2)
	buffer_store_dword v0, v93, s[0:3], 0 offen
	s_waitcnt lgkmcnt(1)
	buffer_store_dword v2, v108, s[0:3], 0 offen
	s_waitcnt lgkmcnt(0)
	buffer_store_dword v3, v131, s[0:3], 0 offen
	buffer_load_dword v0, v94, s[0:3], 0 offen
	buffer_load_dword v2, v109, s[0:3], 0 offen
	s_nop 0
	;; [unrolled: 16-line block ×5, first 2 shown]
	buffer_load_dword v3, v135, s[0:3], 0 offen
	buffer_load_dword v4, v162, s[0:3], 0 offen
	s_waitcnt vmcnt(3)
	ds_bpermute_b32 v0, v1, v0
	s_waitcnt vmcnt(2)
	ds_swizzle_b32 v2, v2 offset:swizzle(SWAP,16)
	s_waitcnt vmcnt(1)
	ds_swizzle_b32 v3, v3 offset:swizzle(SWAP,8)
	;; [unrolled: 2-line block ×3, first 2 shown]
	s_waitcnt lgkmcnt(3)
	buffer_store_dword v0, v97, s[0:3], 0 offen
	buffer_load_dword v0, v114, s[0:3], 0 offen
	s_waitcnt lgkmcnt(2)
	buffer_store_dword v2, v112, s[0:3], 0 offen
	s_waitcnt lgkmcnt(1)
	buffer_store_dword v3, v135, s[0:3], 0 offen
	;; [unrolled: 2-line block ×3, first 2 shown]
	buffer_load_dword v2, v136, s[0:3], 0 offen
	buffer_load_dword v3, v163, s[0:3], 0 offen
	s_nop 0
	buffer_load_dword v4, v113, s[0:3], 0 offen
	s_waitcnt vmcnt(2)
	ds_swizzle_b32 v2, v2 offset:swizzle(SWAP,8)
	ds_swizzle_b32 v0, v0 offset:swizzle(SWAP,16)
	s_waitcnt vmcnt(0)
	ds_swizzle_b32 v4, v4 offset:swizzle(SWAP,16)
	ds_swizzle_b32 v3, v3 offset:swizzle(SWAP,4)
	s_waitcnt lgkmcnt(2)
	buffer_store_dword v0, v114, s[0:3], 0 offen
	buffer_load_dword v0, v115, s[0:3], 0 offen
	s_waitcnt lgkmcnt(1)
	buffer_store_dword v4, v113, s[0:3], 0 offen
	buffer_store_dword v2, v136, s[0:3], 0 offen
	s_waitcnt lgkmcnt(0)
	buffer_store_dword v3, v163, s[0:3], 0 offen
	buffer_load_dword v2, v137, s[0:3], 0 offen
	s_nop 0
	buffer_load_dword v3, v164, s[0:3], 0 offen
	s_waitcnt vmcnt(5)
	ds_swizzle_b32 v0, v0 offset:swizzle(SWAP,16)
	s_waitcnt vmcnt(1)
	ds_swizzle_b32 v2, v2 offset:swizzle(SWAP,8)
	;; [unrolled: 2-line block ×3, first 2 shown]
	s_waitcnt lgkmcnt(2)
	buffer_store_dword v0, v115, s[0:3], 0 offen
	buffer_load_dword v0, v116, s[0:3], 0 offen
	s_waitcnt lgkmcnt(1)
	buffer_store_dword v2, v137, s[0:3], 0 offen
	s_waitcnt lgkmcnt(0)
	buffer_store_dword v3, v164, s[0:3], 0 offen
	buffer_load_dword v2, v138, s[0:3], 0 offen
	s_nop 0
	buffer_load_dword v3, v165, s[0:3], 0 offen
	buffer_load_dword v4, v194, s[0:3], 0 offen
	s_waitcnt vmcnt(2)
	ds_swizzle_b32 v2, v2 offset:swizzle(SWAP,8)
	ds_swizzle_b32 v0, v0 offset:swizzle(SWAP,16)
	s_waitcnt vmcnt(1)
	ds_swizzle_b32 v3, v3 offset:swizzle(SWAP,4)
	s_waitcnt vmcnt(0)
	ds_swizzle_b32 v4, v4 offset:swizzle(SWAP,2)
	s_waitcnt lgkmcnt(2)
	buffer_store_dword v0, v116, s[0:3], 0 offen
	buffer_load_dword v0, v117, s[0:3], 0 offen
	s_nop 0
	buffer_store_dword v2, v138, s[0:3], 0 offen
	s_waitcnt lgkmcnt(1)
	buffer_store_dword v3, v165, s[0:3], 0 offen
	s_waitcnt lgkmcnt(0)
	buffer_store_dword v4, v194, s[0:3], 0 offen
	buffer_load_dword v2, v139, s[0:3], 0 offen
	buffer_load_dword v3, v166, s[0:3], 0 offen
	s_nop 0
	buffer_load_dword v4, v195, s[0:3], 0 offen
	s_waitcnt vmcnt(6)
	ds_swizzle_b32 v0, v0 offset:swizzle(SWAP,16)
	s_waitcnt lgkmcnt(0)
	buffer_store_dword v0, v117, s[0:3], 0 offen
	buffer_load_dword v5, v118, s[0:3], 0 offen
	s_waitcnt vmcnt(4)
	ds_swizzle_b32 v0, v2 offset:swizzle(SWAP,8)
	s_waitcnt vmcnt(3)
	ds_swizzle_b32 v2, v3 offset:swizzle(SWAP,4)
	;; [unrolled: 2-line block ×3, first 2 shown]
	s_waitcnt lgkmcnt(2)
	buffer_store_dword v0, v139, s[0:3], 0 offen
	s_waitcnt lgkmcnt(1)
	buffer_store_dword v2, v166, s[0:3], 0 offen
	;; [unrolled: 2-line block ×3, first 2 shown]
	buffer_load_dword v2, v140, s[0:3], 0 offen
	s_nop 0
	buffer_load_dword v3, v167, s[0:3], 0 offen
	buffer_load_dword v4, v196, s[0:3], 0 offen
	;; [unrolled: 1-line block ×3, first 2 shown]
	s_waitcnt vmcnt(7)
	ds_swizzle_b32 v5, v5 offset:swizzle(SWAP,16)
	s_waitcnt vmcnt(3)
	ds_swizzle_b32 v2, v2 offset:swizzle(SWAP,8)
	s_waitcnt lgkmcnt(1)
	buffer_store_dword v5, v118, s[0:3], 0 offen
	buffer_load_dword v5, v119, s[0:3], 0 offen
	s_waitcnt vmcnt(4)
	ds_swizzle_b32 v3, v3 offset:swizzle(SWAP,4)
	s_waitcnt vmcnt(3)
	ds_swizzle_b32 v4, v4 offset:swizzle(SWAP,2)
	s_waitcnt lgkmcnt(2)
	buffer_store_dword v2, v140, s[0:3], 0 offen
	s_waitcnt lgkmcnt(1)
	buffer_store_dword v3, v167, s[0:3], 0 offen
	;; [unrolled: 2-line block ×3, first 2 shown]
	buffer_load_dword v3, v141, s[0:3], 0 offen
	s_nop 0
	buffer_load_dword v4, v168, s[0:3], 0 offen
	buffer_load_dword v6, v197, s[0:3], 0 offen
	;; [unrolled: 1-line block ×3, first 2 shown]
	s_waitcnt vmcnt(9)
	ds_swizzle_b32 v0, v0 offset:swizzle(SWAP,1)
	s_waitcnt vmcnt(7)
	ds_swizzle_b32 v5, v5 offset:swizzle(SWAP,16)
	;; [unrolled: 2-line block ×4, first 2 shown]
	s_waitcnt lgkmcnt(2)
	buffer_store_dword v5, v119, s[0:3], 0 offen
	buffer_load_dword v5, v120, s[0:3], 0 offen
	s_waitcnt vmcnt(3)
	ds_swizzle_b32 v6, v6 offset:swizzle(SWAP,2)
	s_waitcnt lgkmcnt(2)
	buffer_store_dword v3, v141, s[0:3], 0 offen
	s_waitcnt lgkmcnt(1)
	buffer_store_dword v4, v168, s[0:3], 0 offen
	;; [unrolled: 2-line block ×3, first 2 shown]
	buffer_load_dword v3, v142, s[0:3], 0 offen
	s_nop 0
	buffer_load_dword v6, v169, s[0:3], 0 offen
	buffer_load_dword v7, v198, s[0:3], 0 offen
	;; [unrolled: 1-line block ×3, first 2 shown]
	s_waitcnt vmcnt(9)
	ds_swizzle_b32 v2, v2 offset:swizzle(SWAP,1)
	s_waitcnt vmcnt(7)
	ds_swizzle_b32 v5, v5 offset:swizzle(SWAP,16)
	;; [unrolled: 2-line block ×5, first 2 shown]
	s_waitcnt lgkmcnt(3)
	buffer_store_dword v5, v120, s[0:3], 0 offen
	buffer_load_dword v5, v121, s[0:3], 0 offen
	s_waitcnt lgkmcnt(2)
	buffer_store_dword v3, v142, s[0:3], 0 offen
	s_waitcnt lgkmcnt(1)
	buffer_store_dword v6, v169, s[0:3], 0 offen
	;; [unrolled: 2-line block ×3, first 2 shown]
	buffer_load_dword v3, v143, s[0:3], 0 offen
	s_nop 0
	buffer_load_dword v7, v170, s[0:3], 0 offen
	buffer_load_dword v8, v199, s[0:3], 0 offen
	;; [unrolled: 1-line block ×3, first 2 shown]
	s_waitcnt vmcnt(9)
	ds_swizzle_b32 v4, v4 offset:swizzle(SWAP,1)
	s_waitcnt vmcnt(3)
	ds_swizzle_b32 v3, v3 offset:swizzle(SWAP,8)
	ds_swizzle_b32 v5, v5 offset:swizzle(SWAP,16)
	s_waitcnt vmcnt(2)
	ds_swizzle_b32 v7, v7 offset:swizzle(SWAP,4)
	s_waitcnt vmcnt(1)
	;; [unrolled: 2-line block ×3, first 2 shown]
	ds_swizzle_b32 v6, v6 offset:swizzle(SWAP,1)
	s_waitcnt lgkmcnt(3)
	buffer_store_dword v5, v121, s[0:3], 0 offen
	buffer_load_dword v5, v122, s[0:3], 0 offen
	s_nop 0
	buffer_store_dword v3, v143, s[0:3], 0 offen
	s_waitcnt lgkmcnt(2)
	buffer_store_dword v7, v170, s[0:3], 0 offen
	s_waitcnt lgkmcnt(1)
	buffer_store_dword v8, v199, s[0:3], 0 offen
	buffer_load_dword v3, v144, s[0:3], 0 offen
	buffer_load_dword v7, v171, s[0:3], 0 offen
	;; [unrolled: 1-line block ×3, first 2 shown]
	s_nop 0
	buffer_load_dword v8, v230, s[0:3], 0 offen
	s_waitcnt vmcnt(3)
	ds_swizzle_b32 v3, v3 offset:swizzle(SWAP,8)
	ds_swizzle_b32 v5, v5 offset:swizzle(SWAP,16)
	s_waitcnt vmcnt(2)
	ds_swizzle_b32 v7, v7 offset:swizzle(SWAP,4)
	s_waitcnt vmcnt(1)
	;; [unrolled: 2-line block ×3, first 2 shown]
	ds_swizzle_b32 v8, v8 offset:swizzle(SWAP,1)
	s_waitcnt lgkmcnt(3)
	buffer_store_dword v5, v122, s[0:3], 0 offen
	buffer_load_dword v5, v123, s[0:3], 0 offen
	s_nop 0
	buffer_store_dword v3, v144, s[0:3], 0 offen
	s_waitcnt lgkmcnt(2)
	buffer_store_dword v7, v171, s[0:3], 0 offen
	s_waitcnt lgkmcnt(1)
	buffer_store_dword v9, v200, s[0:3], 0 offen
	buffer_load_dword v3, v145, s[0:3], 0 offen
	buffer_load_dword v7, v172, s[0:3], 0 offen
	s_nop 0
	buffer_load_dword v9, v201, s[0:3], 0 offen
	buffer_load_dword v10, v231, s[0:3], 0 offen
	s_waitcnt vmcnt(3)
	ds_swizzle_b32 v3, v3 offset:swizzle(SWAP,8)
	ds_swizzle_b32 v5, v5 offset:swizzle(SWAP,16)
	s_waitcnt vmcnt(2)
	ds_swizzle_b32 v7, v7 offset:swizzle(SWAP,4)
	s_waitcnt vmcnt(1)
	;; [unrolled: 2-line block ×3, first 2 shown]
	ds_swizzle_b32 v10, v10 offset:swizzle(SWAP,1)
	s_waitcnt lgkmcnt(3)
	buffer_store_dword v5, v123, s[0:3], 0 offen
	buffer_load_dword v5, v124, s[0:3], 0 offen
	s_nop 0
	buffer_load_dword v11, v146, s[0:3], 0 offen
	s_nop 0
	buffer_store_dword v3, v145, s[0:3], 0 offen
	s_waitcnt lgkmcnt(2)
	buffer_store_dword v7, v172, s[0:3], 0 offen
	s_waitcnt lgkmcnt(1)
	buffer_store_dword v9, v201, s[0:3], 0 offen
	buffer_load_dword v3, v173, s[0:3], 0 offen
	buffer_load_dword v7, v202, s[0:3], 0 offen
	;; [unrolled: 1-line block ×3, first 2 shown]
	s_waitcnt vmcnt(7)
	ds_swizzle_b32 v5, v5 offset:swizzle(SWAP,16)
	s_waitcnt vmcnt(6)
	ds_swizzle_b32 v9, v11 offset:swizzle(SWAP,8)
	s_waitcnt lgkmcnt(1)
	buffer_store_dword v5, v124, s[0:3], 0 offen
	s_waitcnt lgkmcnt(0)
	buffer_store_dword v9, v146, s[0:3], 0 offen
	buffer_load_dword v5, v125, s[0:3], 0 offen
	s_nop 0
	buffer_load_dword v9, v147, s[0:3], 0 offen
	s_waitcnt vmcnt(6)
	ds_swizzle_b32 v3, v3 offset:swizzle(SWAP,4)
	s_waitcnt vmcnt(5)
	ds_swizzle_b32 v7, v7 offset:swizzle(SWAP,2)
	s_waitcnt lgkmcnt(1)
	buffer_store_dword v3, v173, s[0:3], 0 offen
	s_waitcnt lgkmcnt(0)
	buffer_store_dword v7, v202, s[0:3], 0 offen
	buffer_load_dword v3, v174, s[0:3], 0 offen
	s_nop 0
	buffer_load_dword v7, v203, s[0:3], 0 offen
	buffer_load_dword v14, v233, s[0:3], 0 offen
	s_waitcnt vmcnt(9)
	ds_swizzle_b32 v12, v12 offset:swizzle(SWAP,1)
	s_waitcnt vmcnt(6)
	ds_swizzle_b32 v5, v5 offset:swizzle(SWAP,16)
	s_waitcnt vmcnt(5)
	ds_swizzle_b32 v9, v9 offset:swizzle(SWAP,8)
	s_waitcnt lgkmcnt(1)
	buffer_store_dword v5, v125, s[0:3], 0 offen
	s_waitcnt lgkmcnt(0)
	buffer_store_dword v9, v147, s[0:3], 0 offen
	buffer_load_dword v5, v126, s[0:3], 0 offen
	s_nop 0
	buffer_load_dword v9, v148, s[0:3], 0 offen
	s_waitcnt vmcnt(6)
	ds_swizzle_b32 v3, v3 offset:swizzle(SWAP,4)
	s_waitcnt vmcnt(5)
	ds_swizzle_b32 v7, v7 offset:swizzle(SWAP,2)
	s_waitcnt lgkmcnt(1)
	buffer_store_dword v3, v174, s[0:3], 0 offen
	s_waitcnt lgkmcnt(0)
	buffer_store_dword v7, v203, s[0:3], 0 offen
	buffer_load_dword v3, v175, s[0:3], 0 offen
	s_nop 0
	buffer_load_dword v7, v204, s[0:3], 0 offen
	buffer_load_dword v17, v234, s[0:3], 0 offen
	s_waitcnt vmcnt(9)
	ds_swizzle_b32 v14, v14 offset:swizzle(SWAP,1)
	;; [unrolled: 25-line block ×6, first 2 shown]
	s_waitcnt vmcnt(5)
	ds_swizzle_b32 v9, v9 offset:swizzle(SWAP,8)
	s_waitcnt lgkmcnt(1)
	buffer_store_dword v5, v154, s[0:3], 0 offen
	buffer_load_dword v5, v155, s[0:3], 0 offen
	s_waitcnt vmcnt(4)
	ds_swizzle_b32 v3, v3 offset:swizzle(SWAP,4)
	s_waitcnt vmcnt(3)
	ds_swizzle_b32 v7, v7 offset:swizzle(SWAP,2)
	s_waitcnt lgkmcnt(2)
	buffer_store_dword v9, v152, s[0:3], 0 offen
	s_waitcnt lgkmcnt(1)
	buffer_store_dword v3, v179, s[0:3], 0 offen
	;; [unrolled: 2-line block ×3, first 2 shown]
	buffer_load_dword v3, v180, s[0:3], 0 offen
	s_nop 0
	buffer_load_dword v7, v209, s[0:3], 0 offen
	buffer_load_dword v31, v239, s[0:3], 0 offen
	;; [unrolled: 1-line block ×3, first 2 shown]
	s_waitcnt vmcnt(9)
	ds_swizzle_b32 v29, v29 offset:swizzle(SWAP,1)
	s_waitcnt vmcnt(7)
	ds_swizzle_b32 v5, v5 offset:swizzle(SWAP,8)
	;; [unrolled: 2-line block ×4, first 2 shown]
	s_waitcnt lgkmcnt(2)
	buffer_store_dword v5, v155, s[0:3], 0 offen
	buffer_load_dword v5, v156, s[0:3], 0 offen
	s_waitcnt vmcnt(2)
	ds_swizzle_b32 v9, v9 offset:swizzle(SWAP,8)
	s_waitcnt lgkmcnt(0)
	buffer_store_dword v9, v153, s[0:3], 0 offen
	buffer_store_dword v3, v180, s[0:3], 0 offen
	;; [unrolled: 1-line block ×3, first 2 shown]
	buffer_load_dword v3, v181, s[0:3], 0 offen
	s_nop 0
	buffer_load_dword v7, v210, s[0:3], 0 offen
	buffer_load_dword v28, v240, s[0:3], 0 offen
	ds_swizzle_b32 v31, v31 offset:swizzle(SWAP,1)
	s_waitcnt vmcnt(6)
	ds_swizzle_b32 v5, v5 offset:swizzle(SWAP,8)
	s_waitcnt lgkmcnt(0)
	buffer_store_dword v5, v156, s[0:3], 0 offen
	buffer_load_dword v5, v157, s[0:3], 0 offen
	s_waitcnt vmcnt(4)
	ds_swizzle_b32 v3, v3 offset:swizzle(SWAP,4)
	s_waitcnt vmcnt(3)
	ds_swizzle_b32 v7, v7 offset:swizzle(SWAP,2)
	s_waitcnt lgkmcnt(1)
	buffer_store_dword v3, v181, s[0:3], 0 offen
	s_waitcnt lgkmcnt(0)
	buffer_store_dword v7, v210, s[0:3], 0 offen
	buffer_load_dword v3, v182, s[0:3], 0 offen
	s_nop 0
	buffer_load_dword v7, v211, s[0:3], 0 offen
	buffer_load_dword v30, v241, s[0:3], 0 offen
	s_waitcnt vmcnt(7)
	ds_swizzle_b32 v28, v28 offset:swizzle(SWAP,1)
	s_waitcnt vmcnt(5)
	ds_swizzle_b32 v5, v5 offset:swizzle(SWAP,8)
	s_waitcnt lgkmcnt(0)
	buffer_store_dword v5, v157, s[0:3], 0 offen
	buffer_load_dword v5, v158, s[0:3], 0 offen
	s_waitcnt vmcnt(4)
	ds_swizzle_b32 v3, v3 offset:swizzle(SWAP,4)
	s_waitcnt vmcnt(3)
	ds_swizzle_b32 v7, v7 offset:swizzle(SWAP,2)
	s_waitcnt lgkmcnt(1)
	buffer_store_dword v3, v182, s[0:3], 0 offen
	s_waitcnt lgkmcnt(0)
	buffer_store_dword v7, v211, s[0:3], 0 offen
	buffer_load_dword v3, v183, s[0:3], 0 offen
	s_nop 0
	buffer_load_dword v7, v212, s[0:3], 0 offen
	buffer_load_dword v26, v242, s[0:3], 0 offen
	s_waitcnt vmcnt(5)
	ds_swizzle_b32 v5, v5 offset:swizzle(SWAP,8)
	s_waitcnt lgkmcnt(0)
	buffer_store_dword v5, v158, s[0:3], 0 offen
	buffer_load_dword v5, v159, s[0:3], 0 offen
	s_waitcnt vmcnt(4)
	ds_swizzle_b32 v3, v3 offset:swizzle(SWAP,4)
	s_waitcnt vmcnt(3)
	ds_swizzle_b32 v7, v7 offset:swizzle(SWAP,2)
	s_waitcnt lgkmcnt(1)
	buffer_store_dword v3, v183, s[0:3], 0 offen
	s_waitcnt lgkmcnt(0)
	buffer_store_dword v7, v212, s[0:3], 0 offen
	buffer_load_dword v3, v184, s[0:3], 0 offen
	s_nop 0
	buffer_load_dword v7, v213, s[0:3], 0 offen
	buffer_load_dword v27, v243, s[0:3], 0 offen
	s_waitcnt vmcnt(7)
	ds_swizzle_b32 v26, v26 offset:swizzle(SWAP,1)
	s_waitcnt vmcnt(5)
	ds_swizzle_b32 v5, v5 offset:swizzle(SWAP,8)
	s_waitcnt lgkmcnt(0)
	buffer_store_dword v5, v159, s[0:3], 0 offen
	buffer_load_dword v5, v160, s[0:3], 0 offen
	s_waitcnt vmcnt(4)
	ds_swizzle_b32 v3, v3 offset:swizzle(SWAP,4)
	s_waitcnt vmcnt(3)
	ds_swizzle_b32 v7, v7 offset:swizzle(SWAP,2)
	s_waitcnt lgkmcnt(1)
	buffer_store_dword v3, v184, s[0:3], 0 offen
	s_waitcnt lgkmcnt(0)
	buffer_store_dword v7, v213, s[0:3], 0 offen
	buffer_load_dword v3, v185, s[0:3], 0 offen
	s_nop 0
	buffer_load_dword v7, v214, s[0:3], 0 offen
	buffer_load_dword v36, v244, s[0:3], 0 offen
	s_waitcnt vmcnt(5)
	ds_swizzle_b32 v5, v5 offset:swizzle(SWAP,8)
	s_waitcnt lgkmcnt(0)
	buffer_store_dword v5, v160, s[0:3], 0 offen
	buffer_load_dword v5, v161, s[0:3], 0 offen
	s_nop 0
	buffer_load_dword v9, v186, s[0:3], 0 offen
	s_waitcnt vmcnt(5)
	ds_swizzle_b32 v3, v3 offset:swizzle(SWAP,4)
	s_waitcnt vmcnt(4)
	ds_swizzle_b32 v7, v7 offset:swizzle(SWAP,2)
	s_waitcnt lgkmcnt(1)
	buffer_store_dword v3, v185, s[0:3], 0 offen
	s_waitcnt lgkmcnt(0)
	buffer_store_dword v7, v214, s[0:3], 0 offen
	buffer_load_dword v3, v215, s[0:3], 0 offen
	buffer_load_dword v37, v245, s[0:3], 0 offen
	s_waitcnt vmcnt(5)
	ds_swizzle_b32 v5, v5 offset:swizzle(SWAP,8)
	s_waitcnt vmcnt(4)
	ds_swizzle_b32 v7, v9 offset:swizzle(SWAP,4)
	s_waitcnt lgkmcnt(1)
	buffer_store_dword v5, v161, s[0:3], 0 offen
	s_waitcnt lgkmcnt(0)
	buffer_store_dword v7, v186, s[0:3], 0 offen
	buffer_load_dword v5, v187, s[0:3], 0 offen
	s_nop 0
	buffer_load_dword v7, v190, s[0:3], 0 offen
	s_waitcnt vmcnt(5)
	ds_swizzle_b32 v3, v3 offset:swizzle(SWAP,2)
	s_waitcnt lgkmcnt(0)
	buffer_store_dword v3, v215, s[0:3], 0 offen
	buffer_load_dword v3, v216, s[0:3], 0 offen
	s_nop 0
	buffer_load_dword v24, v246, s[0:3], 0 offen
	s_waitcnt vmcnt(4)
	ds_swizzle_b32 v5, v5 offset:swizzle(SWAP,4)
	s_waitcnt vmcnt(3)
	ds_swizzle_b32 v7, v7 offset:swizzle(SWAP,4)
	s_waitcnt lgkmcnt(1)
	buffer_store_dword v5, v187, s[0:3], 0 offen
	s_waitcnt lgkmcnt(0)
	buffer_store_dword v7, v190, s[0:3], 0 offen
	buffer_load_dword v5, v188, s[0:3], 0 offen
	s_nop 0
	buffer_load_dword v7, v191, s[0:3], 0 offen
	s_waitcnt vmcnt(5)
	ds_swizzle_b32 v3, v3 offset:swizzle(SWAP,2)
	s_waitcnt vmcnt(4)
	ds_swizzle_b32 v24, v24 offset:swizzle(SWAP,1)
	s_waitcnt lgkmcnt(1)
	buffer_store_dword v3, v216, s[0:3], 0 offen
	buffer_load_dword v9, v217, s[0:3], 0 offen
	buffer_load_dword v25, v247, s[0:3], 0 offen
	s_waitcnt vmcnt(4)
	ds_swizzle_b32 v3, v5 offset:swizzle(SWAP,4)
	s_waitcnt vmcnt(3)
	ds_swizzle_b32 v5, v7 offset:swizzle(SWAP,4)
	s_waitcnt lgkmcnt(1)
	buffer_store_dword v3, v188, s[0:3], 0 offen
	s_waitcnt lgkmcnt(0)
	buffer_store_dword v5, v191, s[0:3], 0 offen
	buffer_load_dword v11, v192, s[0:3], 0 offen
	buffer_load_dword v19, v189, s[0:3], 0 offen
	s_waitcnt vmcnt(5)
	ds_swizzle_b32 v9, v9 offset:swizzle(SWAP,2)
	buffer_store_dword v0, v226, s[0:3], 0 offen
	buffer_load_dword v0, off, s[0:3], 0
	s_nop 0
	buffer_load_dword v65, off, s[0:3], 0 offset:4
	s_waitcnt vmcnt(3)
	ds_swizzle_b32 v19, v19 offset:swizzle(SWAP,4)
	buffer_store_dword v2, v227, s[0:3], 0 offen
	buffer_load_dword v2, off, s[0:3], 0 offset:8
	s_nop 0
	buffer_load_dword v3, off, s[0:3], 0 offset:12
	s_nop 0
	buffer_store_dword v4, v228, s[0:3], 0 offen
	buffer_load_dword v4, off, s[0:3], 0 offset:16
	s_nop 0
	buffer_load_dword v5, off, s[0:3], 0 offset:20
	s_nop 0
	buffer_store_dword v6, v229, s[0:3], 0 offen
	buffer_load_dword v6, off, s[0:3], 0 offset:24
	s_nop 0
	buffer_load_dword v7, off, s[0:3], 0 offset:28
	s_waitcnt lgkmcnt(1)
	buffer_store_dword v9, v217, s[0:3], 0 offen
	buffer_load_dword v21, v218, s[0:3], 0 offen
	buffer_load_dword v38, v248, s[0:3], 0 offen
	ds_swizzle_b32 v9, v11 offset:swizzle(SWAP,4)
	buffer_store_dword v8, v230, s[0:3], 0 offen
	s_waitcnt lgkmcnt(0)
	buffer_store_dword v9, v192, s[0:3], 0 offen
	buffer_load_dword v22, v193, s[0:3], 0 offen
	buffer_load_dword v8, off, s[0:3], 0 offset:32
	s_nop 0
	buffer_load_dword v9, off, s[0:3], 0 offset:36
	s_waitcnt vmcnt(6)
	ds_swizzle_b32 v21, v21 offset:swizzle(SWAP,2)
	buffer_store_dword v10, v231, s[0:3], 0 offen
	buffer_load_dword v10, off, s[0:3], 0 offset:40
	s_nop 0
	buffer_load_dword v11, off, s[0:3], 0 offset:44
	s_nop 0
	buffer_store_dword v12, v232, s[0:3], 0 offen
	buffer_load_dword v12, off, s[0:3], 0 offset:48
	s_nop 0
	buffer_load_dword v13, off, s[0:3], 0 offset:52
	s_nop 0
	;; [unrolled: 5-line block ×3, first 2 shown]
	buffer_store_dword v17, v234, s[0:3], 0 offen
	buffer_load_dword v17, off, s[0:3], 0 offset:68
	s_nop 0
	buffer_store_dword v19, v189, s[0:3], 0 offen
	s_waitcnt lgkmcnt(0)
	buffer_store_dword v21, v218, s[0:3], 0 offen
	buffer_load_dword v32, v220, s[0:3], 0 offen
	buffer_load_dword v33, v222, s[0:3], 0 offen
	;; [unrolled: 1-line block ×4, first 2 shown]
	s_waitcnt vmcnt(19)
	ds_swizzle_b32 v19, v22 offset:swizzle(SWAP,4)
	buffer_store_dword v16, v236, s[0:3], 0 offen
	ds_swizzle_b32 v16, v20 offset:swizzle(SWAP,1)
	buffer_store_dword v18, v235, s[0:3], 0 offen
	buffer_load_dword v21, off, s[0:3], 0 offset:84
	s_waitcnt vmcnt(6)
	ds_swizzle_b32 v32, v32 offset:swizzle(SWAP,2)
	s_waitcnt lgkmcnt(2)
	buffer_store_dword v19, v193, s[0:3], 0 offen
	buffer_load_dword v35, v224, s[0:3], 0 offen
	s_waitcnt vmcnt(7)
	ds_swizzle_b32 v33, v33 offset:swizzle(SWAP,2)
	s_waitcnt vmcnt(5)
	ds_swizzle_b32 v34, v34 offset:swizzle(SWAP,2)
	s_waitcnt lgkmcnt(3)
	buffer_store_dword v16, v237, s[0:3], 0 offen
	buffer_load_dword v19, off, s[0:3], 0 offset:76
	buffer_load_dword v23, off, s[0:3], 0 offset:92
	;; [unrolled: 1-line block ×5, first 2 shown]
	s_nop 0
	buffer_load_dword v16, off, s[0:3], 0 offset:64
	s_nop 0
	buffer_store_dword v29, v238, s[0:3], 0 offen
	buffer_store_dword v31, v239, s[0:3], 0 offen
	buffer_load_dword v29, off, s[0:3], 0 offset:100
	s_nop 0
	buffer_load_dword v31, off, s[0:3], 0 offset:108
	s_waitcnt lgkmcnt(2)
	buffer_store_dword v32, v220, s[0:3], 0 offen
	s_waitcnt lgkmcnt(1)
	buffer_store_dword v33, v222, s[0:3], 0 offen
	;; [unrolled: 2-line block ×3, first 2 shown]
	buffer_load_dword v40, v221, s[0:3], 0 offen
	buffer_load_dword v41, v250, s[0:3], 0 offen
	;; [unrolled: 1-line block ×3, first 2 shown]
	s_waitcnt vmcnt(17)
	ds_swizzle_b32 v32, v35 offset:swizzle(SWAP,2)
	buffer_store_dword v28, v240, s[0:3], 0 offen
	ds_swizzle_b32 v28, v30 offset:swizzle(SWAP,1)
	buffer_load_dword v33, off, s[0:3], 0 offset:116
	s_waitcnt lgkmcnt(1)
	buffer_store_dword v32, v224, s[0:3], 0 offen
	buffer_load_dword v43, v225, s[0:3], 0 offen
	s_waitcnt lgkmcnt(0)
	buffer_store_dword v28, v241, s[0:3], 0 offen
	buffer_load_dword v35, off, s[0:3], 0 offset:124
	buffer_load_dword v34, off, s[0:3], 0 offset:120
	;; [unrolled: 1-line block ×4, first 2 shown]
	s_nop 0
	buffer_load_dword v28, off, s[0:3], 0 offset:96
	s_nop 0
	buffer_store_dword v26, v242, s[0:3], 0 offen
	ds_swizzle_b32 v26, v27 offset:swizzle(SWAP,1)
	s_waitcnt vmcnt(11)
	ds_swizzle_b32 v27, v42 offset:swizzle(SWAP,2)
	buffer_load_dword v53, off, s[0:3], 0 offset:132
	s_waitcnt vmcnt(8)
	ds_swizzle_b32 v42, v43 offset:swizzle(SWAP,2)
	s_waitcnt lgkmcnt(2)
	buffer_store_dword v26, v243, s[0:3], 0 offen
	buffer_load_dword v55, off, s[0:3], 0 offset:140
	ds_swizzle_b32 v26, v36 offset:swizzle(SWAP,1)
	s_waitcnt lgkmcnt(0)
	buffer_store_dword v26, v244, s[0:3], 0 offen
	buffer_load_dword v45, off, s[0:3], 0 offset:148
	ds_swizzle_b32 v26, v37 offset:swizzle(SWAP,1)
	s_waitcnt lgkmcnt(0)
	buffer_store_dword v26, v245, s[0:3], 0 offen
	ds_swizzle_b32 v26, v40 offset:swizzle(SWAP,2)
	s_waitcnt lgkmcnt(0)
	buffer_store_dword v26, v221, s[0:3], 0 offen
	buffer_store_dword v27, v223, s[0:3], 0 offen
	buffer_load_dword v26, v251, s[0:3], 0 offen
	s_nop 0
	buffer_load_dword v27, v252, s[0:3], 0 offen
	buffer_load_dword v36, v253, s[0:3], 0 offen
	buffer_load_dword v37, v254, s[0:3], 0 offen
	buffer_load_dword v40, v255, s[0:3], 0 offen
	s_nop 0
	buffer_store_dword v42, v225, s[0:3], 0 offen
	buffer_load_dword v42, v66, s[0:3], 0 offen
	s_nop 0
	buffer_load_dword v68, v67, s[0:3], 0 offen
	buffer_load_dword v47, off, s[0:3], 0 offset:156
	buffer_load_dword v46, off, s[0:3], 0 offset:152
	;; [unrolled: 1-line block ×5, first 2 shown]
	s_nop 0
	buffer_store_dword v24, v246, s[0:3], 0 offen
	ds_swizzle_b32 v24, v25 offset:swizzle(SWAP,1)
	buffer_load_dword v61, off, s[0:3], 0 offset:164
	s_waitcnt vmcnt(13)
	ds_swizzle_b32 v25, v27 offset:swizzle(SWAP,1)
	s_waitcnt lgkmcnt(1)
	buffer_store_dword v24, v247, s[0:3], 0 offen
	buffer_load_dword v63, off, s[0:3], 0 offset:172
	ds_swizzle_b32 v24, v38 offset:swizzle(SWAP,1)
	s_waitcnt lgkmcnt(0)
	buffer_store_dword v24, v248, s[0:3], 0 offen
	buffer_load_dword v57, off, s[0:3], 0 offset:180
	ds_swizzle_b32 v24, v39 offset:swizzle(SWAP,1)
	s_waitcnt lgkmcnt(0)
	buffer_store_dword v24, v249, s[0:3], 0 offen
	ds_swizzle_b32 v24, v41 offset:swizzle(SWAP,1)
	buffer_load_dword v58, off, s[0:3], 0 offset:184
	buffer_load_dword v59, off, s[0:3], 0 offset:188
	;; [unrolled: 1-line block ×5, first 2 shown]
	s_waitcnt lgkmcnt(0)
	buffer_store_dword v24, v250, s[0:3], 0 offen
	ds_swizzle_b32 v24, v26 offset:swizzle(SWAP,1)
	s_waitcnt lgkmcnt(0)
	buffer_store_dword v24, v251, s[0:3], 0 offen
	buffer_store_dword v25, v252, s[0:3], 0 offen
	s_waitcnt vmcnt(25)
	ds_swizzle_b32 v24, v36 offset:swizzle(SWAP,1)
	s_waitcnt vmcnt(24)
	ds_swizzle_b32 v25, v37 offset:swizzle(SWAP,1)
	;; [unrolled: 2-line block ×3, first 2 shown]
	buffer_load_dword v48, off, s[0:3], 0 offset:192
	buffer_load_dword v49, off, s[0:3], 0 offset:196
	s_waitcnt lgkmcnt(2)
	buffer_store_dword v24, v253, s[0:3], 0 offen
	s_waitcnt lgkmcnt(1)
	buffer_store_dword v25, v254, s[0:3], 0 offen
	;; [unrolled: 2-line block ×3, first 2 shown]
	s_waitcnt vmcnt(26)
	ds_swizzle_b32 v24, v42 offset:swizzle(SWAP,1)
	buffer_load_dword v50, off, s[0:3], 0 offset:200
	buffer_load_dword v51, off, s[0:3], 0 offset:204
	s_waitcnt lgkmcnt(0)
	buffer_store_dword v24, v66, s[0:3], 0 offen
	s_waitcnt vmcnt(28)
	ds_swizzle_b32 v24, v68 offset:swizzle(SWAP,1)
	buffer_load_dword v40, off, s[0:3], 0 offset:208
	buffer_load_dword v41, off, s[0:3], 0 offset:212
	;; [unrolled: 1-line block ×4, first 2 shown]
	s_waitcnt lgkmcnt(0)
	buffer_store_dword v24, v67, s[0:3], 0 offen
	buffer_load_dword v36, off, s[0:3], 0 offset:224
	buffer_load_dword v37, off, s[0:3], 0 offset:228
	;; [unrolled: 1-line block ×4, first 2 shown]
	s_nop 0
	buffer_load_dword v24, off, s[0:3], 0 offset:240
	buffer_load_dword v25, off, s[0:3], 0 offset:244
	;; [unrolled: 1-line block ×4, first 2 shown]
	; wave barrier
	s_cbranch_scc1 .LBB105_2
; %bb.3:
	v_mov_b32_e32 v1, v65
	s_branch .LBB105_5
.LBB105_4:
	v_pk_mov_b32 v[0:1], v[64:65], v[64:65] op_sel:[0,1]
.LBB105_5:
	s_load_dwordx2 s[4:5], s[4:5], 0x0
	v_lshl_or_b32 v64, s8, 14, v64
	v_mov_b32_e32 v65, 0
	v_lshlrev_b64 v[64:65], 2, v[64:65]
	s_waitcnt lgkmcnt(0)
	v_mov_b32_e32 v66, s5
	v_add_co_u32_e32 v64, vcc, s4, v64
	v_addc_co_u32_e32 v65, vcc, v66, v65, vcc
	global_store_dwordx4 v[64:65], v[0:3], off
	global_store_dwordx4 v[64:65], v[4:7], off offset:16
	global_store_dwordx4 v[64:65], v[8:11], off offset:32
	;; [unrolled: 1-line block ×7, first 2 shown]
	s_waitcnt vmcnt(44)
	global_store_dwordx4 v[64:65], v[52:55], off offset:128
	global_store_dwordx4 v[64:65], v[44:47], off offset:144
	s_waitcnt vmcnt(34)
	global_store_dwordx4 v[64:65], v[60:63], off offset:160
	global_store_dwordx4 v[64:65], v[56:59], off offset:176
	s_waitcnt vmcnt(26)
	global_store_dwordx4 v[64:65], v[48:51], off offset:192
	s_waitcnt vmcnt(22)
	;; [unrolled: 2-line block ×4, first 2 shown]
	global_store_dwordx4 v[64:65], v[24:27], off offset:240
	s_endpgm
	.section	.rodata,"a",@progbits
	.p2align	6, 0x0
	.amdhsa_kernel _Z20warp_exchange_kernelILj256ELj64ELj64EN6common25BlockedToStripedShuffleOpEiEvPT3_j
		.amdhsa_group_segment_fixed_size 0
		.amdhsa_private_segment_fixed_size 272
		.amdhsa_kernarg_size 12
		.amdhsa_user_sgpr_count 8
		.amdhsa_user_sgpr_private_segment_buffer 1
		.amdhsa_user_sgpr_dispatch_ptr 0
		.amdhsa_user_sgpr_queue_ptr 0
		.amdhsa_user_sgpr_kernarg_segment_ptr 1
		.amdhsa_user_sgpr_dispatch_id 0
		.amdhsa_user_sgpr_flat_scratch_init 1
		.amdhsa_user_sgpr_kernarg_preload_length 0
		.amdhsa_user_sgpr_kernarg_preload_offset 0
		.amdhsa_user_sgpr_private_segment_size 0
		.amdhsa_uses_dynamic_stack 0
		.amdhsa_system_sgpr_private_segment_wavefront_offset 1
		.amdhsa_system_sgpr_workgroup_id_x 1
		.amdhsa_system_sgpr_workgroup_id_y 0
		.amdhsa_system_sgpr_workgroup_id_z 0
		.amdhsa_system_sgpr_workgroup_info 0
		.amdhsa_system_vgpr_workitem_id 0
		.amdhsa_next_free_vgpr 259
		.amdhsa_next_free_sgpr 18
		.amdhsa_accum_offset 256
		.amdhsa_reserve_vcc 1
		.amdhsa_reserve_flat_scratch 0
		.amdhsa_float_round_mode_32 0
		.amdhsa_float_round_mode_16_64 0
		.amdhsa_float_denorm_mode_32 3
		.amdhsa_float_denorm_mode_16_64 3
		.amdhsa_dx10_clamp 1
		.amdhsa_ieee_mode 1
		.amdhsa_fp16_overflow 0
		.amdhsa_tg_split 0
		.amdhsa_exception_fp_ieee_invalid_op 0
		.amdhsa_exception_fp_denorm_src 0
		.amdhsa_exception_fp_ieee_div_zero 0
		.amdhsa_exception_fp_ieee_overflow 0
		.amdhsa_exception_fp_ieee_underflow 0
		.amdhsa_exception_fp_ieee_inexact 0
		.amdhsa_exception_int_div_zero 0
	.end_amdhsa_kernel
	.section	.text._Z20warp_exchange_kernelILj256ELj64ELj64EN6common25BlockedToStripedShuffleOpEiEvPT3_j,"axG",@progbits,_Z20warp_exchange_kernelILj256ELj64ELj64EN6common25BlockedToStripedShuffleOpEiEvPT3_j,comdat
.Lfunc_end105:
	.size	_Z20warp_exchange_kernelILj256ELj64ELj64EN6common25BlockedToStripedShuffleOpEiEvPT3_j, .Lfunc_end105-_Z20warp_exchange_kernelILj256ELj64ELj64EN6common25BlockedToStripedShuffleOpEiEvPT3_j
                                        ; -- End function
	.section	.AMDGPU.csdata,"",@progbits
; Kernel info:
; codeLenInByte = 10584
; NumSgprs: 22
; NumVgprs: 256
; NumAgprs: 3
; TotalNumVgprs: 259
; ScratchSize: 272
; MemoryBound: 0
; FloatMode: 240
; IeeeMode: 1
; LDSByteSize: 0 bytes/workgroup (compile time only)
; SGPRBlocks: 2
; VGPRBlocks: 32
; NumSGPRsForWavesPerEU: 22
; NumVGPRsForWavesPerEU: 259
; AccumOffset: 256
; Occupancy: 1
; WaveLimiterHint : 0
; COMPUTE_PGM_RSRC2:SCRATCH_EN: 1
; COMPUTE_PGM_RSRC2:USER_SGPR: 8
; COMPUTE_PGM_RSRC2:TRAP_HANDLER: 0
; COMPUTE_PGM_RSRC2:TGID_X_EN: 1
; COMPUTE_PGM_RSRC2:TGID_Y_EN: 0
; COMPUTE_PGM_RSRC2:TGID_Z_EN: 0
; COMPUTE_PGM_RSRC2:TIDIG_COMP_CNT: 0
; COMPUTE_PGM_RSRC3_GFX90A:ACCUM_OFFSET: 63
; COMPUTE_PGM_RSRC3_GFX90A:TG_SPLIT: 0
	.section	.text._Z20warp_exchange_kernelILj256ELj1ELj64EN6common25StripedToBlockedShuffleOpEiEvPT3_j,"axG",@progbits,_Z20warp_exchange_kernelILj256ELj1ELj64EN6common25StripedToBlockedShuffleOpEiEvPT3_j,comdat
	.protected	_Z20warp_exchange_kernelILj256ELj1ELj64EN6common25StripedToBlockedShuffleOpEiEvPT3_j ; -- Begin function _Z20warp_exchange_kernelILj256ELj1ELj64EN6common25StripedToBlockedShuffleOpEiEvPT3_j
	.globl	_Z20warp_exchange_kernelILj256ELj1ELj64EN6common25StripedToBlockedShuffleOpEiEvPT3_j
	.p2align	8
	.type	_Z20warp_exchange_kernelILj256ELj1ELj64EN6common25StripedToBlockedShuffleOpEiEvPT3_j,@function
_Z20warp_exchange_kernelILj256ELj1ELj64EN6common25StripedToBlockedShuffleOpEiEvPT3_j: ; @_Z20warp_exchange_kernelILj256ELj1ELj64EN6common25StripedToBlockedShuffleOpEiEvPT3_j
; %bb.0:
	s_load_dword s0, s[4:5], 0x8
	s_waitcnt lgkmcnt(0)
	s_cmp_eq_u32 s0, 0
	s_cbranch_scc1 .LBB106_3
; %bb.1:
	v_mbcnt_lo_u32_b32 v1, -1, 0
	v_mbcnt_hi_u32_b32 v1, -1, v1
	v_lshlrev_b32_e32 v2, 2, v1
	v_mov_b32_e32 v1, v0
.LBB106_2:                              ; =>This Inner Loop Header: Depth=1
	s_waitcnt lgkmcnt(0)
	ds_bpermute_b32 v1, v2, v1
	s_add_i32 s0, s0, -1
	s_cmp_lg_u32 s0, 0
	; wave barrier
	s_cbranch_scc1 .LBB106_2
	s_branch .LBB106_4
.LBB106_3:
	v_mov_b32_e32 v1, v0
.LBB106_4:
	s_load_dwordx2 s[0:1], s[4:5], 0x0
	v_lshl_or_b32 v2, s6, 8, v0
	v_mov_b32_e32 v3, 0
	v_lshlrev_b64 v[2:3], 2, v[2:3]
	s_waitcnt lgkmcnt(0)
	v_mov_b32_e32 v0, s1
	v_add_co_u32_e32 v2, vcc, s0, v2
	v_addc_co_u32_e32 v3, vcc, v0, v3, vcc
	global_store_dword v[2:3], v1, off
	s_endpgm
	.section	.rodata,"a",@progbits
	.p2align	6, 0x0
	.amdhsa_kernel _Z20warp_exchange_kernelILj256ELj1ELj64EN6common25StripedToBlockedShuffleOpEiEvPT3_j
		.amdhsa_group_segment_fixed_size 0
		.amdhsa_private_segment_fixed_size 0
		.amdhsa_kernarg_size 12
		.amdhsa_user_sgpr_count 6
		.amdhsa_user_sgpr_private_segment_buffer 1
		.amdhsa_user_sgpr_dispatch_ptr 0
		.amdhsa_user_sgpr_queue_ptr 0
		.amdhsa_user_sgpr_kernarg_segment_ptr 1
		.amdhsa_user_sgpr_dispatch_id 0
		.amdhsa_user_sgpr_flat_scratch_init 0
		.amdhsa_user_sgpr_kernarg_preload_length 0
		.amdhsa_user_sgpr_kernarg_preload_offset 0
		.amdhsa_user_sgpr_private_segment_size 0
		.amdhsa_uses_dynamic_stack 0
		.amdhsa_system_sgpr_private_segment_wavefront_offset 0
		.amdhsa_system_sgpr_workgroup_id_x 1
		.amdhsa_system_sgpr_workgroup_id_y 0
		.amdhsa_system_sgpr_workgroup_id_z 0
		.amdhsa_system_sgpr_workgroup_info 0
		.amdhsa_system_vgpr_workitem_id 0
		.amdhsa_next_free_vgpr 4
		.amdhsa_next_free_sgpr 7
		.amdhsa_accum_offset 4
		.amdhsa_reserve_vcc 1
		.amdhsa_reserve_flat_scratch 0
		.amdhsa_float_round_mode_32 0
		.amdhsa_float_round_mode_16_64 0
		.amdhsa_float_denorm_mode_32 3
		.amdhsa_float_denorm_mode_16_64 3
		.amdhsa_dx10_clamp 1
		.amdhsa_ieee_mode 1
		.amdhsa_fp16_overflow 0
		.amdhsa_tg_split 0
		.amdhsa_exception_fp_ieee_invalid_op 0
		.amdhsa_exception_fp_denorm_src 0
		.amdhsa_exception_fp_ieee_div_zero 0
		.amdhsa_exception_fp_ieee_overflow 0
		.amdhsa_exception_fp_ieee_underflow 0
		.amdhsa_exception_fp_ieee_inexact 0
		.amdhsa_exception_int_div_zero 0
	.end_amdhsa_kernel
	.section	.text._Z20warp_exchange_kernelILj256ELj1ELj64EN6common25StripedToBlockedShuffleOpEiEvPT3_j,"axG",@progbits,_Z20warp_exchange_kernelILj256ELj1ELj64EN6common25StripedToBlockedShuffleOpEiEvPT3_j,comdat
.Lfunc_end106:
	.size	_Z20warp_exchange_kernelILj256ELj1ELj64EN6common25StripedToBlockedShuffleOpEiEvPT3_j, .Lfunc_end106-_Z20warp_exchange_kernelILj256ELj1ELj64EN6common25StripedToBlockedShuffleOpEiEvPT3_j
                                        ; -- End function
	.section	.AMDGPU.csdata,"",@progbits
; Kernel info:
; codeLenInByte = 132
; NumSgprs: 11
; NumVgprs: 4
; NumAgprs: 0
; TotalNumVgprs: 4
; ScratchSize: 0
; MemoryBound: 0
; FloatMode: 240
; IeeeMode: 1
; LDSByteSize: 0 bytes/workgroup (compile time only)
; SGPRBlocks: 1
; VGPRBlocks: 0
; NumSGPRsForWavesPerEU: 11
; NumVGPRsForWavesPerEU: 4
; AccumOffset: 4
; Occupancy: 8
; WaveLimiterHint : 0
; COMPUTE_PGM_RSRC2:SCRATCH_EN: 0
; COMPUTE_PGM_RSRC2:USER_SGPR: 6
; COMPUTE_PGM_RSRC2:TRAP_HANDLER: 0
; COMPUTE_PGM_RSRC2:TGID_X_EN: 1
; COMPUTE_PGM_RSRC2:TGID_Y_EN: 0
; COMPUTE_PGM_RSRC2:TGID_Z_EN: 0
; COMPUTE_PGM_RSRC2:TIDIG_COMP_CNT: 0
; COMPUTE_PGM_RSRC3_GFX90A:ACCUM_OFFSET: 0
; COMPUTE_PGM_RSRC3_GFX90A:TG_SPLIT: 0
	.section	.text._Z20warp_exchange_kernelILj256ELj4ELj64EN6common25StripedToBlockedShuffleOpEiEvPT3_j,"axG",@progbits,_Z20warp_exchange_kernelILj256ELj4ELj64EN6common25StripedToBlockedShuffleOpEiEvPT3_j,comdat
	.protected	_Z20warp_exchange_kernelILj256ELj4ELj64EN6common25StripedToBlockedShuffleOpEiEvPT3_j ; -- Begin function _Z20warp_exchange_kernelILj256ELj4ELj64EN6common25StripedToBlockedShuffleOpEiEvPT3_j
	.globl	_Z20warp_exchange_kernelILj256ELj4ELj64EN6common25StripedToBlockedShuffleOpEiEvPT3_j
	.p2align	8
	.type	_Z20warp_exchange_kernelILj256ELj4ELj64EN6common25StripedToBlockedShuffleOpEiEvPT3_j,@function
_Z20warp_exchange_kernelILj256ELj4ELj64EN6common25StripedToBlockedShuffleOpEiEvPT3_j: ; @_Z20warp_exchange_kernelILj256ELj4ELj64EN6common25StripedToBlockedShuffleOpEiEvPT3_j
; %bb.0:
	s_load_dword s7, s[4:5], 0x8
	v_lshlrev_b32_e32 v0, 2, v0
	v_or_b32_e32 v1, 1, v0
	v_or_b32_e32 v2, 2, v0
	;; [unrolled: 1-line block ×3, first 2 shown]
	s_waitcnt lgkmcnt(0)
	s_cmp_eq_u32 s7, 0
	s_cbranch_scc1 .LBB107_4
; %bb.1:
	v_mbcnt_lo_u32_b32 v4, -1, 0
	v_mbcnt_hi_u32_b32 v4, -1, v4
	v_lshlrev_b32_e32 v5, 2, v4
	v_and_b32_e32 v6, 64, v4
	v_and_or_b32 v5, v5, 60, v6
	v_lshrrev_b32_e32 v4, 4, v4
	v_lshlrev_b32_e32 v5, 2, v5
	v_cmp_eq_u32_e32 vcc, 3, v4
	v_cmp_eq_u32_e64 s[0:1], 2, v4
	v_cmp_eq_u32_e64 s[2:3], 1, v4
	v_or_b32_e32 v6, 4, v5
	v_or_b32_e32 v7, 8, v5
	;; [unrolled: 1-line block ×3, first 2 shown]
	v_mov_b32_e32 v4, v0
.LBB107_2:                              ; =>This Inner Loop Header: Depth=1
	v_mov_b32_e32 v9, v1
	v_mov_b32_e32 v10, v4
	ds_bpermute_b32 v1, v5, v4
	ds_bpermute_b32 v4, v5, v9
	;; [unrolled: 1-line block ×6, first 2 shown]
	s_waitcnt lgkmcnt(4)
	v_cndmask_b32_e64 v1, v1, v4, s[2:3]
	s_waitcnt lgkmcnt(3)
	v_cndmask_b32_e64 v1, v1, v11, s[0:1]
	ds_bpermute_b32 v4, v5, v3
	ds_bpermute_b32 v11, v6, v10
	;; [unrolled: 1-line block ×5, first 2 shown]
	s_waitcnt lgkmcnt(4)
	v_cndmask_b32_e32 v4, v1, v4, vcc
	s_waitcnt lgkmcnt(3)
	v_cndmask_b32_e64 v1, v11, v12, s[2:3]
	v_cndmask_b32_e64 v1, v1, v13, s[0:1]
	ds_bpermute_b32 v9, v8, v9
	v_cndmask_b32_e32 v1, v1, v14, vcc
	ds_bpermute_b32 v12, v7, v2
	ds_bpermute_b32 v14, v8, v2
	;; [unrolled: 1-line block ×4, first 2 shown]
	s_waitcnt lgkmcnt(6)
	v_cndmask_b32_e64 v11, v15, v16, s[2:3]
	s_waitcnt lgkmcnt(4)
	v_cndmask_b32_e64 v9, v10, v9, s[2:3]
	;; [unrolled: 2-line block ×4, first 2 shown]
	s_add_i32 s7, s7, -1
	s_waitcnt lgkmcnt(1)
	v_cndmask_b32_e32 v2, v2, v13, vcc
	s_waitcnt lgkmcnt(0)
	v_cndmask_b32_e32 v3, v9, v3, vcc
	s_cmp_lg_u32 s7, 0
	; wave barrier
	s_cbranch_scc1 .LBB107_2
; %bb.3:
	v_mov_b32_e32 v5, v1
	v_mov_b32_e32 v6, v2
	;; [unrolled: 1-line block ×3, first 2 shown]
	s_branch .LBB107_5
.LBB107_4:
	v_pk_mov_b32 v[6:7], v[2:3], v[2:3] op_sel:[0,1]
	v_pk_mov_b32 v[4:5], v[0:1], v[0:1] op_sel:[0,1]
.LBB107_5:
	s_load_dwordx2 s[0:1], s[4:5], 0x0
	v_lshl_or_b32 v0, s6, 10, v0
	v_mov_b32_e32 v1, 0
	v_lshlrev_b64 v[0:1], 2, v[0:1]
	s_waitcnt lgkmcnt(0)
	v_mov_b32_e32 v2, s1
	v_add_co_u32_e32 v0, vcc, s0, v0
	v_addc_co_u32_e32 v1, vcc, v2, v1, vcc
	global_store_dwordx4 v[0:1], v[4:7], off
	s_endpgm
	.section	.rodata,"a",@progbits
	.p2align	6, 0x0
	.amdhsa_kernel _Z20warp_exchange_kernelILj256ELj4ELj64EN6common25StripedToBlockedShuffleOpEiEvPT3_j
		.amdhsa_group_segment_fixed_size 0
		.amdhsa_private_segment_fixed_size 0
		.amdhsa_kernarg_size 12
		.amdhsa_user_sgpr_count 6
		.amdhsa_user_sgpr_private_segment_buffer 1
		.amdhsa_user_sgpr_dispatch_ptr 0
		.amdhsa_user_sgpr_queue_ptr 0
		.amdhsa_user_sgpr_kernarg_segment_ptr 1
		.amdhsa_user_sgpr_dispatch_id 0
		.amdhsa_user_sgpr_flat_scratch_init 0
		.amdhsa_user_sgpr_kernarg_preload_length 0
		.amdhsa_user_sgpr_kernarg_preload_offset 0
		.amdhsa_user_sgpr_private_segment_size 0
		.amdhsa_uses_dynamic_stack 0
		.amdhsa_system_sgpr_private_segment_wavefront_offset 0
		.amdhsa_system_sgpr_workgroup_id_x 1
		.amdhsa_system_sgpr_workgroup_id_y 0
		.amdhsa_system_sgpr_workgroup_id_z 0
		.amdhsa_system_sgpr_workgroup_info 0
		.amdhsa_system_vgpr_workitem_id 0
		.amdhsa_next_free_vgpr 17
		.amdhsa_next_free_sgpr 8
		.amdhsa_accum_offset 20
		.amdhsa_reserve_vcc 1
		.amdhsa_reserve_flat_scratch 0
		.amdhsa_float_round_mode_32 0
		.amdhsa_float_round_mode_16_64 0
		.amdhsa_float_denorm_mode_32 3
		.amdhsa_float_denorm_mode_16_64 3
		.amdhsa_dx10_clamp 1
		.amdhsa_ieee_mode 1
		.amdhsa_fp16_overflow 0
		.amdhsa_tg_split 0
		.amdhsa_exception_fp_ieee_invalid_op 0
		.amdhsa_exception_fp_denorm_src 0
		.amdhsa_exception_fp_ieee_div_zero 0
		.amdhsa_exception_fp_ieee_overflow 0
		.amdhsa_exception_fp_ieee_underflow 0
		.amdhsa_exception_fp_ieee_inexact 0
		.amdhsa_exception_int_div_zero 0
	.end_amdhsa_kernel
	.section	.text._Z20warp_exchange_kernelILj256ELj4ELj64EN6common25StripedToBlockedShuffleOpEiEvPT3_j,"axG",@progbits,_Z20warp_exchange_kernelILj256ELj4ELj64EN6common25StripedToBlockedShuffleOpEiEvPT3_j,comdat
.Lfunc_end107:
	.size	_Z20warp_exchange_kernelILj256ELj4ELj64EN6common25StripedToBlockedShuffleOpEiEvPT3_j, .Lfunc_end107-_Z20warp_exchange_kernelILj256ELj4ELj64EN6common25StripedToBlockedShuffleOpEiEvPT3_j
                                        ; -- End function
	.section	.AMDGPU.csdata,"",@progbits
; Kernel info:
; codeLenInByte = 468
; NumSgprs: 12
; NumVgprs: 17
; NumAgprs: 0
; TotalNumVgprs: 17
; ScratchSize: 0
; MemoryBound: 0
; FloatMode: 240
; IeeeMode: 1
; LDSByteSize: 0 bytes/workgroup (compile time only)
; SGPRBlocks: 1
; VGPRBlocks: 2
; NumSGPRsForWavesPerEU: 12
; NumVGPRsForWavesPerEU: 17
; AccumOffset: 20
; Occupancy: 8
; WaveLimiterHint : 0
; COMPUTE_PGM_RSRC2:SCRATCH_EN: 0
; COMPUTE_PGM_RSRC2:USER_SGPR: 6
; COMPUTE_PGM_RSRC2:TRAP_HANDLER: 0
; COMPUTE_PGM_RSRC2:TGID_X_EN: 1
; COMPUTE_PGM_RSRC2:TGID_Y_EN: 0
; COMPUTE_PGM_RSRC2:TGID_Z_EN: 0
; COMPUTE_PGM_RSRC2:TIDIG_COMP_CNT: 0
; COMPUTE_PGM_RSRC3_GFX90A:ACCUM_OFFSET: 4
; COMPUTE_PGM_RSRC3_GFX90A:TG_SPLIT: 0
	.section	.text._Z20warp_exchange_kernelILj256ELj16ELj64EN6common25StripedToBlockedShuffleOpEiEvPT3_j,"axG",@progbits,_Z20warp_exchange_kernelILj256ELj16ELj64EN6common25StripedToBlockedShuffleOpEiEvPT3_j,comdat
	.protected	_Z20warp_exchange_kernelILj256ELj16ELj64EN6common25StripedToBlockedShuffleOpEiEvPT3_j ; -- Begin function _Z20warp_exchange_kernelILj256ELj16ELj64EN6common25StripedToBlockedShuffleOpEiEvPT3_j
	.globl	_Z20warp_exchange_kernelILj256ELj16ELj64EN6common25StripedToBlockedShuffleOpEiEvPT3_j
	.p2align	8
	.type	_Z20warp_exchange_kernelILj256ELj16ELj64EN6common25StripedToBlockedShuffleOpEiEvPT3_j,@function
_Z20warp_exchange_kernelILj256ELj16ELj64EN6common25StripedToBlockedShuffleOpEiEvPT3_j: ; @_Z20warp_exchange_kernelILj256ELj16ELj64EN6common25StripedToBlockedShuffleOpEiEvPT3_j
; %bb.0:
	s_load_dword s7, s[4:5], 0x8
	v_lshlrev_b32_e32 v16, 4, v0
	v_or_b32_e32 v17, 1, v16
	v_or_b32_e32 v18, 2, v16
	;; [unrolled: 1-line block ×14, first 2 shown]
	s_waitcnt lgkmcnt(0)
	s_cmp_lg_u32 s7, 0
	v_or_b32_e32 v25, 15, v16
	s_cbranch_scc0 .LBB108_6
; %bb.1:
	v_mbcnt_lo_u32_b32 v0, -1, 0
	v_mbcnt_hi_u32_b32 v0, -1, v0
	v_and_b32_e32 v1, 64, v0
	v_add_u32_e32 v2, 60, v0
	v_and_or_b32 v2, v2, 63, v1
	v_lshlrev_b32_e32 v32, 2, v2
	v_add_u32_e32 v2, 56, v0
	v_and_or_b32 v2, v2, 63, v1
	v_lshlrev_b32_e32 v33, 2, v2
	;; [unrolled: 3-line block ×7, first 2 shown]
	v_lshlrev_b32_e32 v2, 2, v0
	v_xor_b32_e32 v39, 0x80, v2
	v_add_u32_e32 v2, 28, v0
	v_and_or_b32 v2, v2, 63, v1
	v_lshlrev_b32_e32 v40, 2, v2
	v_add_u32_e32 v2, 24, v0
	v_and_or_b32 v2, v2, 63, v1
	v_lshlrev_b32_e32 v41, 2, v2
	;; [unrolled: 3-line block ×7, first 2 shown]
	v_lshrrev_b32_e32 v1, 2, v0
	v_add_u32_e32 v4, 14, v1
	v_and_b32_e32 v47, 15, v4
	v_add_u32_e32 v4, 13, v1
	v_and_b32_e32 v48, 15, v4
	v_add_u32_e32 v4, 12, v1
	v_bfe_u32 v2, v0, 2, 4
	v_and_b32_e32 v49, 15, v4
	v_add_u32_e32 v4, 11, v1
	v_add_u32_e32 v3, -1, v1
	v_and_b32_e32 v50, 15, v4
	v_add_u32_e32 v4, 10, v1
	v_add_u32_e32 v1, 9, v1
	v_xor_b32_e32 v53, 8, v2
	v_and_b32_e32 v52, 15, v1
	v_add_u32_e32 v1, -1, v53
	v_and_b32_e32 v54, 15, v1
	v_add_u32_e32 v1, 14, v53
	v_and_b32_e32 v55, 15, v1
	v_add_u32_e32 v1, 13, v53
	;; [unrolled: 2-line block ×3, first 2 shown]
	v_and_b32_e32 v61, 3, v0
	v_and_b32_e32 v57, 15, v1
	v_add_u32_e32 v1, 11, v53
	v_add_u32_e32 v0, -1, v0
	v_xor_b32_e32 v63, 2, v61
	v_and_b32_e32 v58, 15, v1
	v_add_u32_e32 v1, 10, v53
	v_and_b32_e32 v62, 3, v0
	v_add_u32_e32 v0, 3, v63
	v_and_b32_e32 v3, 15, v3
	v_and_b32_e32 v59, 15, v1
	v_add_u32_e32 v1, 9, v53
	v_and_b32_e32 v64, 3, v0
	v_and_b32_e32 v51, 15, v4
	;; [unrolled: 1-line block ×3, first 2 shown]
	v_or_b32_e32 v65, 4, v0
	v_or_b32_e32 v66, 12, v0
	v_cmp_eq_u32_e32 vcc, 1, v2
	v_cmp_eq_u32_e64 s[0:1], 2, v2
	v_cmp_eq_u32_e64 s[2:3], 3, v2
	;; [unrolled: 1-line block ×36, first 2 shown]
	v_mov_b32_e32 v3, v25
	v_mov_b32_e32 v2, v24
	;; [unrolled: 1-line block ×16, first 2 shown]
	v_or_b32_e32 v67, 4, v61
	v_or_b32_e32 v68, 8, v61
	;; [unrolled: 1-line block ×10, first 2 shown]
                                        ; implicit-def: $vgpr88
                                        ; implicit-def: $vgpr87
                                        ; implicit-def: $vgpr86
                                        ; implicit-def: $vgpr85
                                        ; implicit-def: $vgpr84
                                        ; implicit-def: $vgpr83
                                        ; implicit-def: $vgpr82
                                        ; implicit-def: $vgpr81
                                        ; implicit-def: $vgpr80
                                        ; implicit-def: $vgpr79
                                        ; implicit-def: $vgpr78
                                        ; implicit-def: $vgpr77
.LBB108_2:                              ; =>This Inner Loop Header: Depth=1
	ds_bpermute_b32 v99, v32, v13
	ds_bpermute_b32 v97, v33, v14
	ds_bpermute_b32 v90, v34, v15
	ds_bpermute_b32 v89, v35, v8
	v_cmp_eq_u32_e64 s[78:79], 0, v47
	s_waitcnt lgkmcnt(3)
	v_cndmask_b32_e64 v91, v12, v99, s[62:63]
	s_waitcnt lgkmcnt(2)
	v_cndmask_b32_e64 v92, v91, v97, s[78:79]
	ds_bpermute_b32 v91, v36, v9
	v_cmp_eq_u32_e64 s[78:79], 0, v48
	s_waitcnt lgkmcnt(2)
	v_cndmask_b32_e64 v93, v92, v90, s[78:79]
	ds_bpermute_b32 v92, v37, v10
	v_cmp_eq_u32_e64 s[78:79], 0, v49
	;; [unrolled: 4-line block ×6, first 2 shown]
	s_waitcnt lgkmcnt(2)
	v_cndmask_b32_e64 v100, v98, v94, s[78:79]
	ds_bpermute_b32 v98, v42, v7
	ds_bpermute_b32 v101, v43, v0
	v_cmp_eq_u32_e64 s[78:79], 0, v54
	ds_bpermute_b32 v102, v44, v1
	s_waitcnt lgkmcnt(4)
	v_cndmask_b32_e64 v100, v100, v95, s[78:79]
	v_cmp_eq_u32_e64 s[78:79], 0, v55
	ds_bpermute_b32 v103, v45, v2
	s_waitcnt lgkmcnt(4)
	v_cndmask_b32_e64 v100, v100, v96, s[78:79]
	;; [unrolled: 4-line block ×3, first 2 shown]
	v_cmp_eq_u32_e64 s[78:79], 0, v57
	s_waitcnt lgkmcnt(3)
	v_cndmask_b32_e64 v100, v100, v101, s[78:79]
	v_cmp_eq_u32_e64 s[78:79], 0, v58
	s_waitcnt lgkmcnt(2)
	v_cndmask_b32_e64 v100, v100, v102, s[78:79]
	;; [unrolled: 3-line block ×4, first 2 shown]
	v_cmp_eq_u32_e64 s[78:79], 0, v61
	v_cndmask_b32_e64 v11, v11, v12, s[12:13]
	v_cndmask_b32_e64 v108, v1, v12, s[24:25]
	;; [unrolled: 1-line block ×3, first 2 shown]
	v_cmp_eq_u32_e64 s[78:79], 4, v61
	v_cndmask_b32_e64 v105, v8, v12, s[76:77]
	v_cndmask_b32_e64 v106, v4, v12, s[14:15]
	;; [unrolled: 1-line block ×4, first 2 shown]
	v_cmp_eq_u32_e64 s[78:79], 7, v47
	v_cndmask_b32_e32 v13, v13, v12, vcc
	v_cndmask_b32_e64 v14, v14, v12, s[0:1]
	v_cndmask_b32_e64 v15, v15, v12, s[2:3]
	;; [unrolled: 1-line block ×13, first 2 shown]
	v_cmp_eq_u32_e64 s[78:79], 8, v47
	v_cndmask_b32_e64 v3, v3, v99, s[30:31]
	v_cndmask_b32_e64 v2, v2, v99, s[34:35]
	;; [unrolled: 1-line block ×14, first 2 shown]
	v_cmp_eq_u32_e64 s[78:79], 9, v47
	v_cndmask_b32_e64 v5, v5, v97, s[78:79]
	v_cmp_eq_u32_e64 s[78:79], 10, v47
	v_cndmask_b32_e64 v6, v6, v97, s[78:79]
	;; [unrolled: 2-line block ×11, first 2 shown]
	v_cndmask_b32_e64 v14, v14, v97, s[66:67]
	v_cndmask_b32_e64 v15, v15, v97, s[68:69]
	;; [unrolled: 1-line block ×5, first 2 shown]
	v_cmp_eq_u32_e64 s[78:79], 11, v48
	v_cndmask_b32_e64 v7, v7, v90, s[78:79]
	v_cmp_eq_u32_e64 s[78:79], 10, v48
	v_cndmask_b32_e64 v6, v6, v90, s[78:79]
	;; [unrolled: 2-line block ×200, first 2 shown]
	v_cmp_eq_u32_e64 s[78:79], 11, v61
	ds_bpermute_b32 v13, v46, v13
	v_cndmask_b32_e64 v80, v80, v100, s[78:79]
	v_cmp_eq_u32_e64 s[78:79], 12, v61
	v_cndmask_b32_e64 v0, v0, v100, s[78:79]
	v_cmp_eq_u32_e64 s[78:79], 13, v61
	;; [unrolled: 2-line block ×5, first 2 shown]
	s_waitcnt lgkmcnt(0)
	v_cndmask_b32_e64 v77, v77, v13, s[78:79]
	v_cmp_eq_u32_e64 s[78:79], 14, v67
	v_cndmask_b32_e64 v78, v78, v13, s[78:79]
	v_cmp_eq_u32_e64 s[78:79], 13, v67
	;; [unrolled: 2-line block ×11, first 2 shown]
	ds_bpermute_b32 v14, v45, v14
	v_cndmask_b32_e64 v8, v8, v13, s[78:79]
	v_cmp_eq_u32_e64 s[78:79], 3, v67
	v_cndmask_b32_e64 v86, v86, v13, s[78:79]
	v_cmp_eq_u32_e64 s[78:79], 2, v67
	;; [unrolled: 2-line block ×5, first 2 shown]
	s_waitcnt lgkmcnt(0)
	v_cndmask_b32_e64 v1, v1, v14, s[78:79]
	v_cmp_eq_u32_e64 s[78:79], 1, v68
	v_cndmask_b32_e64 v13, v88, v14, s[78:79]
	v_cmp_eq_u32_e64 s[78:79], 2, v68
	;; [unrolled: 2-line block ×11, first 2 shown]
	ds_bpermute_b32 v15, v44, v15
	v_cndmask_b32_e64 v80, v80, v14, s[78:79]
	v_cmp_eq_u32_e64 s[78:79], 12, v68
	v_cndmask_b32_e64 v0, v0, v14, s[78:79]
	v_cmp_eq_u32_e64 s[78:79], 13, v68
	;; [unrolled: 2-line block ×5, first 2 shown]
	s_waitcnt lgkmcnt(0)
	v_cndmask_b32_e64 v14, v14, v15, s[78:79]
	v_cmp_eq_u32_e64 s[78:79], 14, v69
	v_cndmask_b32_e64 v77, v78, v15, s[78:79]
	v_cmp_eq_u32_e64 s[78:79], 13, v69
	v_cndmask_b32_e64 v78, v79, v15, s[78:79]
	v_cmp_eq_u32_e64 s[78:79], 12, v69
	v_cndmask_b32_e64 v0, v0, v15, s[78:79]
	v_cmp_eq_u32_e64 s[78:79], 11, v69
	v_cndmask_b32_e64 v79, v80, v15, s[78:79]
	v_cmp_eq_u32_e64 s[78:79], 10, v69
	v_cndmask_b32_e64 v80, v81, v15, s[78:79]
	v_cmp_eq_u32_e64 s[78:79], 9, v69
	v_cndmask_b32_e64 v81, v82, v15, s[78:79]
	v_cmp_eq_u32_e64 s[78:79], 8, v69
	v_cndmask_b32_e64 v4, v4, v15, s[78:79]
	v_cmp_eq_u32_e64 s[78:79], 7, v69
	v_cndmask_b32_e64 v82, v83, v15, s[78:79]
	v_cmp_eq_u32_e64 s[78:79], 6, v69
	v_cndmask_b32_e64 v83, v84, v15, s[78:79]
	v_cmp_eq_u32_e64 s[78:79], 5, v69
	ds_bpermute_b32 v90, v43, v90
	v_cndmask_b32_e64 v84, v85, v15, s[78:79]
	v_cmp_eq_u32_e64 s[78:79], 4, v69
	v_cndmask_b32_e64 v8, v8, v15, s[78:79]
	v_cmp_eq_u32_e64 s[78:79], 3, v69
	v_cndmask_b32_e64 v85, v86, v15, s[78:79]
	v_cmp_eq_u32_e64 s[78:79], 2, v69
	v_cndmask_b32_e64 v86, v87, v15, s[78:79]
	v_cmp_eq_u32_e64 s[78:79], 1, v69
	v_cndmask_b32_e64 v13, v13, v15, s[78:79]
	v_cmp_eq_u32_e64 s[78:79], 0, v69
	s_waitcnt lgkmcnt(0)
	v_mov_b32_dpp v90, v90 quad_perm:[3,0,1,2] row_mask:0xf bank_mask:0xf
	v_cndmask_b32_e64 v1, v1, v15, s[78:79]
	v_cmp_eq_u32_e64 s[78:79], 0, v62
	v_cndmask_b32_e64 v1, v1, v90, s[78:79]
	v_cmp_eq_u32_e64 s[78:79], 1, v62
	v_cndmask_b32_e64 v13, v13, v90, s[78:79]
	v_cmp_eq_u32_e64 s[78:79], 2, v62
	v_cndmask_b32_e64 v15, v86, v90, s[78:79]
	v_cmp_eq_u32_e64 s[78:79], 3, v62
	v_cndmask_b32_e64 v85, v85, v90, s[78:79]
	v_cmp_eq_u32_e64 s[78:79], 4, v62
	v_cndmask_b32_e64 v8, v8, v90, s[78:79]
	v_cmp_eq_u32_e64 s[78:79], 5, v62
	v_cndmask_b32_e64 v84, v84, v90, s[78:79]
	v_cmp_eq_u32_e64 s[78:79], 6, v62
	v_cndmask_b32_e64 v83, v83, v90, s[78:79]
	v_cmp_eq_u32_e64 s[78:79], 7, v62
	v_cndmask_b32_e64 v82, v82, v90, s[78:79]
	v_cmp_eq_u32_e64 s[78:79], 8, v62
	v_cndmask_b32_e64 v4, v4, v90, s[78:79]
	v_cmp_eq_u32_e64 s[78:79], 9, v62
	v_cndmask_b32_e64 v81, v81, v90, s[78:79]
	v_cmp_eq_u32_e64 s[78:79], 10, v62
	ds_bpermute_b32 v9, v42, v9
	v_cndmask_b32_e64 v80, v80, v90, s[78:79]
	v_cmp_eq_u32_e64 s[78:79], 11, v62
	v_cndmask_b32_e64 v79, v79, v90, s[78:79]
	v_cmp_eq_u32_e64 s[78:79], 12, v62
	v_cndmask_b32_e64 v0, v0, v90, s[78:79]
	v_cmp_eq_u32_e64 s[78:79], 13, v62
	v_cndmask_b32_e64 v78, v78, v90, s[78:79]
	v_cmp_eq_u32_e64 s[78:79], 14, v62
	v_cndmask_b32_e64 v77, v77, v90, s[78:79]
	v_cmp_eq_u32_e64 s[78:79], 15, v62
	s_waitcnt lgkmcnt(0)
	v_mov_b32_dpp v9, v9 quad_perm:[3,0,1,2] row_mask:0xf bank_mask:0xf
	v_cndmask_b32_e64 v14, v14, v90, s[78:79]
	v_cmp_eq_u32_e64 s[78:79], 15, v70
	;; [unrolled: 35-line block ×12, first 2 shown]
	v_cndmask_b32_e64 v77, v2, v3, s[78:79]
	v_cmp_eq_u32_e64 s[78:79], 14, v66
	v_cndmask_b32_e64 v78, v10, v3, s[78:79]
	v_cmp_eq_u32_e64 s[78:79], 13, v66
	;; [unrolled: 2-line block ×15, first 2 shown]
	s_add_i32 s7, s7, -1
	v_cndmask_b32_e64 v12, v1, v3, s[78:79]
	v_mov_b32_dpp v13, v88 quad_perm:[1,2,3,0] row_mask:0xf bank_mask:0xf
	v_mov_b32_dpp v14, v87 quad_perm:[2,3,0,1] row_mask:0xf bank_mask:0xf
	;; [unrolled: 1-line block ×12, first 2 shown]
	s_cmp_lg_u32 s7, 0
	; wave barrier
	s_cbranch_scc1 .LBB108_2
; %bb.3:
	s_branch .LBB108_5
.LBB108_4:
	v_pk_mov_b32 v[14:15], v[18:19], v[18:19] op_sel:[0,1]
	v_pk_mov_b32 v[10:11], v[20:21], v[20:21] op_sel:[0,1]
	;; [unrolled: 1-line block ×5, first 2 shown]
	v_mov_b32_e32 v8, v26
	v_mov_b32_e32 v9, v27
	;; [unrolled: 1-line block ×6, first 2 shown]
.LBB108_5:
	s_load_dwordx2 s[0:1], s[4:5], 0x0
	v_lshl_or_b32 v16, s6, 12, v16
	v_mov_b32_e32 v17, 0
	v_lshlrev_b64 v[16:17], 2, v[16:17]
	s_waitcnt lgkmcnt(0)
	v_mov_b32_e32 v18, s1
	v_add_co_u32_e32 v16, vcc, s0, v16
	v_addc_co_u32_e32 v17, vcc, v18, v17, vcc
	global_store_dwordx4 v[16:17], v[12:15], off
	global_store_dwordx4 v[16:17], v[8:11], off offset:16
	global_store_dwordx4 v[16:17], v[4:7], off offset:32
	;; [unrolled: 1-line block ×3, first 2 shown]
	s_endpgm
.LBB108_6:
                                        ; implicit-def: $vgpr1
                                        ; implicit-def: $vgpr5
                                        ; implicit-def: $vgpr9
                                        ; implicit-def: $vgpr12_vgpr13
	s_cbranch_execnz .LBB108_4
	s_branch .LBB108_5
	.section	.rodata,"a",@progbits
	.p2align	6, 0x0
	.amdhsa_kernel _Z20warp_exchange_kernelILj256ELj16ELj64EN6common25StripedToBlockedShuffleOpEiEvPT3_j
		.amdhsa_group_segment_fixed_size 0
		.amdhsa_private_segment_fixed_size 0
		.amdhsa_kernarg_size 12
		.amdhsa_user_sgpr_count 6
		.amdhsa_user_sgpr_private_segment_buffer 1
		.amdhsa_user_sgpr_dispatch_ptr 0
		.amdhsa_user_sgpr_queue_ptr 0
		.amdhsa_user_sgpr_kernarg_segment_ptr 1
		.amdhsa_user_sgpr_dispatch_id 0
		.amdhsa_user_sgpr_flat_scratch_init 0
		.amdhsa_user_sgpr_kernarg_preload_length 0
		.amdhsa_user_sgpr_kernarg_preload_offset 0
		.amdhsa_user_sgpr_private_segment_size 0
		.amdhsa_uses_dynamic_stack 0
		.amdhsa_system_sgpr_private_segment_wavefront_offset 0
		.amdhsa_system_sgpr_workgroup_id_x 1
		.amdhsa_system_sgpr_workgroup_id_y 0
		.amdhsa_system_sgpr_workgroup_id_z 0
		.amdhsa_system_sgpr_workgroup_info 0
		.amdhsa_system_vgpr_workitem_id 0
		.amdhsa_next_free_vgpr 109
		.amdhsa_next_free_sgpr 80
		.amdhsa_accum_offset 112
		.amdhsa_reserve_vcc 1
		.amdhsa_reserve_flat_scratch 0
		.amdhsa_float_round_mode_32 0
		.amdhsa_float_round_mode_16_64 0
		.amdhsa_float_denorm_mode_32 3
		.amdhsa_float_denorm_mode_16_64 3
		.amdhsa_dx10_clamp 1
		.amdhsa_ieee_mode 1
		.amdhsa_fp16_overflow 0
		.amdhsa_tg_split 0
		.amdhsa_exception_fp_ieee_invalid_op 0
		.amdhsa_exception_fp_denorm_src 0
		.amdhsa_exception_fp_ieee_div_zero 0
		.amdhsa_exception_fp_ieee_overflow 0
		.amdhsa_exception_fp_ieee_underflow 0
		.amdhsa_exception_fp_ieee_inexact 0
		.amdhsa_exception_int_div_zero 0
	.end_amdhsa_kernel
	.section	.text._Z20warp_exchange_kernelILj256ELj16ELj64EN6common25StripedToBlockedShuffleOpEiEvPT3_j,"axG",@progbits,_Z20warp_exchange_kernelILj256ELj16ELj64EN6common25StripedToBlockedShuffleOpEiEvPT3_j,comdat
.Lfunc_end108:
	.size	_Z20warp_exchange_kernelILj256ELj16ELj64EN6common25StripedToBlockedShuffleOpEiEvPT3_j, .Lfunc_end108-_Z20warp_exchange_kernelILj256ELj16ELj64EN6common25StripedToBlockedShuffleOpEiEvPT3_j
                                        ; -- End function
	.section	.AMDGPU.csdata,"",@progbits
; Kernel info:
; codeLenInByte = 9492
; NumSgprs: 84
; NumVgprs: 109
; NumAgprs: 0
; TotalNumVgprs: 109
; ScratchSize: 0
; MemoryBound: 0
; FloatMode: 240
; IeeeMode: 1
; LDSByteSize: 0 bytes/workgroup (compile time only)
; SGPRBlocks: 10
; VGPRBlocks: 13
; NumSGPRsForWavesPerEU: 84
; NumVGPRsForWavesPerEU: 109
; AccumOffset: 112
; Occupancy: 4
; WaveLimiterHint : 0
; COMPUTE_PGM_RSRC2:SCRATCH_EN: 0
; COMPUTE_PGM_RSRC2:USER_SGPR: 6
; COMPUTE_PGM_RSRC2:TRAP_HANDLER: 0
; COMPUTE_PGM_RSRC2:TGID_X_EN: 1
; COMPUTE_PGM_RSRC2:TGID_Y_EN: 0
; COMPUTE_PGM_RSRC2:TGID_Z_EN: 0
; COMPUTE_PGM_RSRC2:TIDIG_COMP_CNT: 0
; COMPUTE_PGM_RSRC3_GFX90A:ACCUM_OFFSET: 27
; COMPUTE_PGM_RSRC3_GFX90A:TG_SPLIT: 0
	.section	.text._Z20warp_exchange_kernelILj256ELj64ELj64EN6common25StripedToBlockedShuffleOpEiEvPT3_j,"axG",@progbits,_Z20warp_exchange_kernelILj256ELj64ELj64EN6common25StripedToBlockedShuffleOpEiEvPT3_j,comdat
	.protected	_Z20warp_exchange_kernelILj256ELj64ELj64EN6common25StripedToBlockedShuffleOpEiEvPT3_j ; -- Begin function _Z20warp_exchange_kernelILj256ELj64ELj64EN6common25StripedToBlockedShuffleOpEiEvPT3_j
	.globl	_Z20warp_exchange_kernelILj256ELj64ELj64EN6common25StripedToBlockedShuffleOpEiEvPT3_j
	.p2align	8
	.type	_Z20warp_exchange_kernelILj256ELj64ELj64EN6common25StripedToBlockedShuffleOpEiEvPT3_j,@function
_Z20warp_exchange_kernelILj256ELj64ELj64EN6common25StripedToBlockedShuffleOpEiEvPT3_j: ; @_Z20warp_exchange_kernelILj256ELj64ELj64EN6common25StripedToBlockedShuffleOpEiEvPT3_j
; %bb.0:
	s_add_u32 s0, s0, s9
	s_load_dword s9, s[4:5], 0x8
	s_addc_u32 s1, s1, 0
	v_lshlrev_b32_e32 v64, 6, v0
	v_or_b32_e32 v65, 1, v64
	v_or_b32_e32 v3, 3, v64
	;; [unrolled: 1-line block ×62, first 2 shown]
	s_waitcnt lgkmcnt(0)
	s_cmp_eq_u32 s9, 0
	v_or_b32_e32 v26, 62, v64
	s_cbranch_scc1 .LBB109_4
; %bb.1:
	v_mbcnt_lo_u32_b32 v0, -1, 0
	v_mbcnt_hi_u32_b32 v0, -1, v0
	v_and_b32_e32 v66, 32, v0
	v_lshlrev_b32_e32 v1, 2, v66
	v_and_b32_e32 v68, 64, v0
	v_xor_b32_e32 v133, 0x80, v1
	v_xor_b32_e32 v1, 32, v0
	v_add_u32_e32 v68, 64, v68
	v_cmp_lt_i32_e32 vcc, v1, v68
	v_cndmask_b32_e32 v1, v0, v1, vcc
	v_and_b32_e32 v95, 16, v0
	v_and_b32_e32 v97, 8, v0
	v_and_b32_e32 v98, 4, v0
	v_and_b32_e32 v100, 2, v0
	v_and_b32_e32 v0, 1, v0
	v_mov_b32_e32 v68, 0x84
	v_cmp_eq_u32_e64 s[12:13], 0, v66
	v_mov_b32_e32 v69, 0x88
	v_mov_b32_e32 v71, 0x8c
	;; [unrolled: 1-line block ×8, first 2 shown]
	v_cmp_eq_u32_e64 s[14:15], 0, v95
	v_mov_b32_e32 v96, 0x80
	v_cmp_eq_u32_e64 s[10:11], 0, v97
	v_cmp_eq_u32_e64 s[16:17], 0, v98
	;; [unrolled: 1-line block ×3, first 2 shown]
	v_cmp_eq_u32_e32 vcc, 0, v0
	v_cndmask_b32_e64 v136, 4, v68, s[12:13]
	v_cndmask_b32_e64 v70, 8, v69, s[12:13]
	v_mov_b32_e32 v73, 0x90
	v_mov_b32_e32 v79, 0x9c
	;; [unrolled: 1-line block ×4, first 2 shown]
	v_cndmask_b32_e64 v115, v68, v89, s[14:15]
	v_cndmask_b32_e64 v116, v69, v90, s[14:15]
	;; [unrolled: 1-line block ×7, first 2 shown]
	v_cndmask_b32_e32 v242, v96, v68, vcc
	v_cndmask_b32_e64 v211, v68, v71, s[6:7]
	v_cndmask_b32_e32 v243, v69, v71, vcc
	v_mov_b32_e32 v68, 0xbc
	v_mov_b32_e32 v69, 0xdc
	v_cndmask_b32_e64 v74, 16, v73, s[12:13]
	v_mov_b32_e32 v80, 0xa0
	v_mov_b32_e32 v83, 0xac
	;; [unrolled: 1-line block ×7, first 2 shown]
	v_cndmask_b32_e64 v118, v73, v92, s[14:15]
	v_cndmask_b32_e64 v150, v73, v84, s[10:11]
	v_cndmask_b32_e64 v178, v96, v73, s[16:17]
	v_cndmask_b32_e64 v181, v71, v79, s[16:17]
	v_cndmask_b32_e64 v212, v73, v77, s[6:7]
	v_cndmask_b32_e32 v244, v73, v75, vcc
	v_cndmask_b32_e64 v213, v75, v79, s[6:7]
	v_cndmask_b32_e32 v245, v77, v79, vcc
	v_cndmask_b32_e64 v73, 28, v79, s[12:13]
	v_cndmask_b32_e64 v121, v79, v69, s[14:15]
	;; [unrolled: 1-line block ×3, first 2 shown]
	v_mov_b32_e32 v79, 0xe4
	v_cndmask_b32_e64 v72, 12, v71, s[12:13]
	v_cndmask_b32_e64 v78, 24, v77, s[12:13]
	v_mov_b32_e32 v93, 0xd4
	v_cndmask_b32_e64 v114, v96, v87, s[14:15]
	v_cndmask_b32_e64 v117, v71, v91, s[14:15]
	;; [unrolled: 1-line block ×6, first 2 shown]
	v_mov_b32_e32 v71, 0xe0
	v_cndmask_b32_e32 v246, v80, v81, vcc
	v_cndmask_b32_e64 v77, 36, v81, s[12:13]
	v_cndmask_b32_e64 v123, v81, v79, s[14:15]
	;; [unrolled: 1-line block ×4, first 2 shown]
	v_mov_b32_e32 v81, 0xe8
	v_mov_b32_e32 v96, 0xec
	;; [unrolled: 1-line block ×5, first 2 shown]
	v_bfrev_b32_e32 v104, 0.5
	v_cndmask_b32_e64 v76, 20, v75, s[12:13]
	v_mov_b32_e32 v88, 0x44
	v_cndmask_b32_e64 v119, v75, v93, s[14:15]
	v_cndmask_b32_e64 v151, v75, v85, s[10:11]
	;; [unrolled: 1-line block ×9, first 2 shown]
	v_cndmask_b32_e32 v247, v82, v83, vcc
	v_cndmask_b32_e64 v82, 44, v83, s[12:13]
	v_cndmask_b32_e64 v125, v83, v96, s[14:15]
	;; [unrolled: 1-line block ×6, first 2 shown]
	v_cndmask_b32_e32 v248, v84, v85, vcc
	v_cndmask_b32_e64 v84, 52, v85, s[12:13]
	v_cndmask_b32_e64 v127, v85, v102, s[14:15]
	v_cndmask_b32_e64 v217, v85, v68, s[6:7]
	v_cndmask_b32_e64 v85, 56, v86, s[12:13]
	v_cndmask_b32_e64 v128, v86, v103, s[14:15]
	v_cndmask_b32_e32 v249, v86, v68, vcc
	v_cndmask_b32_e64 v86, 60, v68, s[12:13]
	v_cndmask_b32_e64 v129, v68, v104, s[14:15]
	v_mov_b32_e32 v68, 0x48
	v_cndmask_b32_e64 v105, 64, v87, s[12:13]
	v_cndmask_b32_e64 v154, v87, v71, s[10:11]
	;; [unrolled: 1-line block ×4, first 2 shown]
	v_cndmask_b32_e32 v250, v87, v89, vcc
	v_cndmask_b32_e64 v87, v88, v89, s[12:13]
	v_cndmask_b32_e64 v155, v89, v79, s[10:11]
	;; [unrolled: 1-line block ×7, first 2 shown]
	v_cndmask_b32_e32 v251, v90, v91, vcc
	v_mov_b32_e32 v90, 0x4c
	v_cndmask_b32_e64 v106, v90, v91, s[12:13]
	v_cndmask_b32_e64 v157, v91, v96, s[10:11]
	;; [unrolled: 1-line block ×3, first 2 shown]
	v_mov_b32_e32 v91, 0x50
	v_cndmask_b32_e64 v107, v91, v92, s[12:13]
	v_cndmask_b32_e64 v158, v92, v101, s[10:11]
	;; [unrolled: 1-line block ×3, first 2 shown]
	v_cndmask_b32_e32 v252, v92, v93, vcc
	v_mov_b32_e32 v92, 0x54
	v_cndmask_b32_e64 v108, v92, v93, s[12:13]
	v_cndmask_b32_e64 v159, v93, v102, s[10:11]
	;; [unrolled: 1-line block ×3, first 2 shown]
	v_mov_b32_e32 v93, 0x58
	v_cndmask_b32_e64 v109, v93, v94, s[12:13]
	v_cndmask_b32_e64 v160, v94, v103, s[10:11]
	v_cndmask_b32_e32 v253, v94, v69, vcc
	v_mov_b32_e32 v94, 0x5c
	v_cndmask_b32_e64 v110, v94, v69, s[12:13]
	v_cndmask_b32_e64 v161, v69, v104, s[10:11]
	v_mov_b32_e32 v69, 0x60
	v_cndmask_b32_e64 v111, v69, v71, s[12:13]
	v_cndmask_b32_e64 v190, v71, v101, s[16:17]
	v_cndmask_b32_e64 v222, v71, v81, s[6:7]
	v_cndmask_b32_e32 v254, v71, v79, vcc
	v_mov_b32_e32 v71, 0x64
	v_cndmask_b32_e64 v112, v71, v79, s[12:13]
	v_cndmask_b32_e64 v191, v79, v102, s[16:17]
	;; [unrolled: 1-line block ×3, first 2 shown]
	v_mov_b32_e32 v79, 0x68
	v_lshlrev_b32_e32 v0, 2, v0
	v_cndmask_b32_e64 v113, v79, v81, s[12:13]
	v_cndmask_b32_e64 v192, v81, v103, s[16:17]
	v_cndmask_b32_e32 v255, v81, v96, vcc
	v_mov_b32_e32 v81, 0x6c
	v_xor_b32_e32 v0, 4, v0
	v_cndmask_b32_e64 v130, v81, v96, s[12:13]
	v_cndmask_b32_e64 v193, v96, v104, s[16:17]
	v_mov_b32_e32 v96, 0x70
	v_or_b32_e32 v226, 0, v0
	v_cndmask_b32_e64 v0, 16, 20, vcc
	v_cndmask_b32_e64 v132, v96, v101, s[12:13]
	v_cndmask_b32_e64 v224, v101, v103, s[6:7]
	v_cndmask_b32_e32 v66, v101, v102, vcc
	v_mov_b32_e32 v101, 0x74
	v_add_u32_e32 v228, 0, v0
	v_cndmask_b32_e64 v0, 24, 28, vcc
	v_cndmask_b32_e64 v134, v101, v102, s[12:13]
	v_cndmask_b32_e64 v225, v102, v104, s[6:7]
	v_mov_b32_e32 v102, 0x78
	v_lshlrev_b32_e32 v95, 2, v95
	v_cndmask_b32_e64 v139, 32, v69, s[14:15]
	v_cndmask_b32_e64 v140, 64, v69, s[10:11]
	;; [unrolled: 1-line block ×4, first 2 shown]
	v_cndmask_b32_e32 v238, v69, v71, vcc
	v_lshlrev_b32_e32 v69, 2, v98
	v_add_u32_e32 v229, 0, v0
	v_cndmask_b32_e64 v0, 32, 36, vcc
	v_cndmask_b32_e64 v135, v102, v103, s[12:13]
	v_cndmask_b32_e32 v67, v103, v104, vcc
	v_mov_b32_e32 v103, 0x7c
	v_xor_b32_e32 v137, 64, v95
	v_lshlrev_b32_e32 v95, 2, v97
	v_cndmask_b32_e64 v144, v68, v79, s[10:11]
	v_xor_b32_e32 v172, 16, v69
	v_cndmask_b32_e64 v197, v68, v93, s[16:17]
	v_lshlrev_b32_e32 v69, 2, v100
	v_cndmask_b32_e64 v100, 8, v68, s[14:15]
	v_cndmask_b32_e64 v202, 64, v68, s[6:7]
	v_cndmask_b32_e32 v235, v68, v90, vcc
	v_add_u32_e32 v68, 0, v133
	v_add_u32_e32 v230, 0, v0
	v_cndmask_b32_e64 v0, 40, 44, vcc
	v_cndmask_b32_e64 v104, v103, v104, s[12:13]
	v_xor_b32_e32 v138, 32, v95
	v_cndmask_b32_e64 v141, 36, v71, s[14:15]
	v_cndmask_b32_e64 v142, v88, v71, s[10:11]
	;; [unrolled: 1-line block ×18, first 2 shown]
	v_xor_b32_e32 v200, 8, v69
	v_accvgpr_write_b32 a0, v68
	v_add_u32_e32 v68, 0, v136
	v_add_u32_e32 v231, 0, v0
	v_cndmask_b32_e64 v0, 48, 52, vcc
	v_cndmask_b32_e64 v99, 4, v88, s[14:15]
	v_cndmask_b32_e64 v131, 4, 36, s[10:11]
	;; [unrolled: 1-line block ×4, first 2 shown]
	v_cndmask_b32_e64 v227, 8, 12, vcc
	v_cndmask_b32_e64 v175, v71, v101, s[16:17]
	v_cndmask_b32_e64 v207, v71, v81, s[6:7]
	;; [unrolled: 1-line block ×3, first 2 shown]
	v_cndmask_b32_e32 v239, v79, v81, vcc
	v_cndmask_b32_e64 v177, v81, v103, s[16:17]
	v_cndmask_b32_e64 v208, v96, v102, s[6:7]
	v_cndmask_b32_e32 v240, v96, v101, vcc
	v_cndmask_b32_e64 v209, v101, v103, s[6:7]
	v_cndmask_b32_e32 v241, v102, v103, vcc
	v_cndmask_b32_e64 v102, 16, v91, s[14:15]
	v_cndmask_b32_e64 v204, v91, v93, s[6:7]
	v_cndmask_b32_e32 v236, v91, v92, vcc
	v_cndmask_b32_e64 v103, 20, v92, s[14:15]
	;; [unrolled: 3-line block ×3, first 2 shown]
	v_cndmask_b32_e64 v203, v88, v90, s[6:7]
	v_cndmask_b32_e32 v234, 64, v88, vcc
	v_accvgpr_write_b32 a1, v68
	v_add_u32_e32 v68, 0, v70
	v_add_u32_e32 v69, 0, v72
	;; [unrolled: 1-line block ×41, first 2 shown]
	v_cndmask_b32_e64 v132, 8, 40, s[10:11]
	v_cndmask_b32_e64 v133, 12, 44, s[10:11]
	v_cndmask_b32_e64 v134, 16, 48, s[10:11]
	v_cndmask_b32_e64 v135, 20, 52, s[10:11]
	v_cndmask_b32_e64 v136, 24, 56, s[10:11]
	v_cndmask_b32_e64 v137, 28, 60, s[10:11]
	v_add_u32_e32 v138, 0, v140
	v_add_u32_e32 v139, 0, v142
	;; [unrolled: 1-line block ×9, first 2 shown]
	v_cndmask_b32_e64 v164, 8, 24, s[16:17]
	v_cndmask_b32_e64 v165, 12, 28, s[16:17]
	v_cndmask_b32_e64 v166, 32, 48, s[16:17]
	v_cndmask_b32_e64 v167, 36, 52, s[16:17]
	v_cndmask_b32_e64 v168, 40, 56, s[16:17]
	v_cndmask_b32_e64 v169, 44, 60, s[16:17]
	v_add_u32_e32 v170, 0, v173
	v_add_u32_e32 v171, 0, v194
	;; [unrolled: 1-line block ×4, first 2 shown]
	v_or_b32_e32 v194, 0, v200
	v_cndmask_b32_e64 v196, 16, 24, s[6:7]
	v_cndmask_b32_e64 v197, 20, 28, s[6:7]
	v_cndmask_b32_e64 v198, 32, 40, s[6:7]
	v_cndmask_b32_e64 v199, 36, 44, s[6:7]
	v_cndmask_b32_e64 v200, 48, 56, s[6:7]
	v_cndmask_b32_e64 v201, 52, 60, s[6:7]
	v_add_u32_e32 v232, 0, v0
	v_cndmask_b32_e64 v0, 56, 60, vcc
	v_lshlrev_b32_e32 v1, 2, v1
	v_accvgpr_write_b32 a2, v68
	v_add_u32_e32 v73, 0, v73
	v_add_u32_e32 v99, 0, v99
	;; [unrolled: 1-line block ×72, first 2 shown]
	v_or_b32_e32 v195, 0, v195
	v_add_u32_e32 v196, 0, v196
	v_add_u32_e32 v197, 0, v197
	;; [unrolled: 1-line block ×30, first 2 shown]
	v_or_b32_e32 v227, 0, v227
	v_add_u32_e32 v233, 0, v0
	v_add_u32_e32 v234, 0, v234
	;; [unrolled: 1-line block ×25, first 2 shown]
	v_mov_b32_e32 v0, v64
.LBB109_2:                              ; =>This Inner Loop Header: Depth=1
	buffer_store_dword v0, off, s[0:3], 0
	buffer_store_dword v3, off, s[0:3], 0 offset:12
	buffer_store_dword v2, off, s[0:3], 0 offset:8
	;; [unrolled: 1-line block ×32, first 2 shown]
	s_waitcnt vmcnt(62)
	buffer_store_dword v52, off, s[0:3], 0 offset:128
	v_accvgpr_read_b32 v2, a0
	buffer_load_dword v0, v2, s[0:3], 0 offen
	s_add_i32 s9, s9, -1
	s_cmp_lg_u32 s9, 0
	s_waitcnt vmcnt(0)
	ds_bpermute_b32 v0, v1, v0
	s_waitcnt lgkmcnt(0)
	buffer_store_dword v0, v2, s[0:3], 0 offen
	v_accvgpr_read_b32 v2, a1
	buffer_load_dword v0, v2, s[0:3], 0 offen
	s_nop 0
	buffer_store_dword v55, off, s[0:3], 0 offset:140
	buffer_store_dword v54, off, s[0:3], 0 offset:136
	s_waitcnt vmcnt(2)
	ds_bpermute_b32 v0, v1, v0
	s_waitcnt lgkmcnt(0)
	buffer_store_dword v0, v2, s[0:3], 0 offen
	v_accvgpr_read_b32 v2, a2
	buffer_load_dword v0, v2, s[0:3], 0 offen
	s_waitcnt vmcnt(0)
	ds_bpermute_b32 v0, v1, v0
	s_waitcnt lgkmcnt(0)
	buffer_store_dword v0, v2, s[0:3], 0 offen
	buffer_load_dword v0, v69, s[0:3], 0 offen
	s_nop 0
	buffer_store_dword v44, off, s[0:3], 0 offset:144
	buffer_store_dword v45, off, s[0:3], 0 offset:148
	s_waitcnt vmcnt(2)
	ds_bpermute_b32 v0, v1, v0
	s_waitcnt lgkmcnt(0)
	buffer_store_dword v0, v69, s[0:3], 0 offen
	buffer_load_dword v0, v70, s[0:3], 0 offen
	s_waitcnt vmcnt(0)
	ds_bpermute_b32 v0, v1, v0
	s_waitcnt lgkmcnt(0)
	buffer_store_dword v0, v70, s[0:3], 0 offen
	buffer_load_dword v0, v71, s[0:3], 0 offen
	s_nop 0
	buffer_store_dword v46, off, s[0:3], 0 offset:152
	buffer_store_dword v47, off, s[0:3], 0 offset:156
	s_waitcnt vmcnt(2)
	ds_bpermute_b32 v0, v1, v0
	s_waitcnt lgkmcnt(0)
	buffer_store_dword v0, v71, s[0:3], 0 offen
	;; [unrolled: 13-line block ×7, first 2 shown]
	buffer_load_dword v0, v82, s[0:3], 0 offen
	s_nop 0
	buffer_store_dword v51, off, s[0:3], 0 offset:204
	buffer_store_dword v50, off, s[0:3], 0 offset:200
	buffer_store_dword v41, off, s[0:3], 0 offset:212
	buffer_store_dword v40, off, s[0:3], 0 offset:208
	buffer_store_dword v43, off, s[0:3], 0 offset:220
	buffer_store_dword v42, off, s[0:3], 0 offset:216
	buffer_store_dword v37, off, s[0:3], 0 offset:228
	buffer_store_dword v36, off, s[0:3], 0 offset:224
	buffer_store_dword v39, off, s[0:3], 0 offset:236
	buffer_store_dword v38, off, s[0:3], 0 offset:232
	buffer_store_dword v25, off, s[0:3], 0 offset:244
	buffer_store_dword v24, off, s[0:3], 0 offset:240
	buffer_store_dword v26, off, s[0:3], 0 offset:248
	buffer_store_dword v27, off, s[0:3], 0 offset:252
	s_waitcnt vmcnt(14)
	ds_bpermute_b32 v0, v1, v0
	s_waitcnt lgkmcnt(0)
	buffer_store_dword v0, v82, s[0:3], 0 offen
	buffer_load_dword v0, v83, s[0:3], 0 offen
	s_nop 0
	buffer_load_dword v2, v98, s[0:3], 0 offen
	s_waitcnt vmcnt(1)
	ds_bpermute_b32 v0, v1, v0
	s_waitcnt vmcnt(0)
	ds_swizzle_b32 v2, v2 offset:swizzle(SWAP,16)
	s_waitcnt lgkmcnt(1)
	buffer_store_dword v0, v83, s[0:3], 0 offen
	s_waitcnt lgkmcnt(0)
	buffer_store_dword v2, v98, s[0:3], 0 offen
	buffer_load_dword v0, v84, s[0:3], 0 offen
	s_nop 0
	buffer_load_dword v2, v99, s[0:3], 0 offen
	s_waitcnt vmcnt(1)
	ds_bpermute_b32 v0, v1, v0
	s_waitcnt vmcnt(0)
	ds_swizzle_b32 v2, v2 offset:swizzle(SWAP,16)
	s_waitcnt lgkmcnt(1)
	buffer_store_dword v0, v84, s[0:3], 0 offen
	;; [unrolled: 11-line block ×9, first 2 shown]
	s_waitcnt lgkmcnt(0)
	buffer_store_dword v2, v106, s[0:3], 0 offen
	buffer_load_dword v0, v92, s[0:3], 0 offen
	s_nop 0
	buffer_load_dword v2, v107, s[0:3], 0 offen
	buffer_load_dword v3, v130, s[0:3], 0 offen
	s_waitcnt vmcnt(2)
	ds_bpermute_b32 v0, v1, v0
	s_waitcnt vmcnt(1)
	ds_swizzle_b32 v2, v2 offset:swizzle(SWAP,16)
	s_waitcnt vmcnt(0)
	ds_swizzle_b32 v3, v3 offset:swizzle(SWAP,8)
	s_waitcnt lgkmcnt(2)
	buffer_store_dword v0, v92, s[0:3], 0 offen
	s_waitcnt lgkmcnt(1)
	buffer_store_dword v2, v107, s[0:3], 0 offen
	s_waitcnt lgkmcnt(0)
	buffer_store_dword v3, v130, s[0:3], 0 offen
	buffer_load_dword v0, v93, s[0:3], 0 offen
	buffer_load_dword v2, v108, s[0:3], 0 offen
	s_nop 0
	buffer_load_dword v3, v131, s[0:3], 0 offen
	s_waitcnt vmcnt(2)
	ds_bpermute_b32 v0, v1, v0
	s_waitcnt vmcnt(1)
	ds_swizzle_b32 v2, v2 offset:swizzle(SWAP,16)
	s_waitcnt vmcnt(0)
	ds_swizzle_b32 v3, v3 offset:swizzle(SWAP,8)
	s_waitcnt lgkmcnt(2)
	buffer_store_dword v0, v93, s[0:3], 0 offen
	s_waitcnt lgkmcnt(1)
	buffer_store_dword v2, v108, s[0:3], 0 offen
	s_waitcnt lgkmcnt(0)
	buffer_store_dword v3, v131, s[0:3], 0 offen
	buffer_load_dword v0, v94, s[0:3], 0 offen
	buffer_load_dword v2, v109, s[0:3], 0 offen
	s_nop 0
	;; [unrolled: 16-line block ×5, first 2 shown]
	buffer_load_dword v3, v135, s[0:3], 0 offen
	buffer_load_dword v4, v162, s[0:3], 0 offen
	s_waitcnt vmcnt(3)
	ds_bpermute_b32 v0, v1, v0
	s_waitcnt vmcnt(2)
	ds_swizzle_b32 v2, v2 offset:swizzle(SWAP,16)
	s_waitcnt vmcnt(1)
	ds_swizzle_b32 v3, v3 offset:swizzle(SWAP,8)
	;; [unrolled: 2-line block ×3, first 2 shown]
	s_waitcnt lgkmcnt(3)
	buffer_store_dword v0, v97, s[0:3], 0 offen
	buffer_load_dword v0, v114, s[0:3], 0 offen
	s_waitcnt lgkmcnt(2)
	buffer_store_dword v2, v112, s[0:3], 0 offen
	s_waitcnt lgkmcnt(1)
	buffer_store_dword v3, v135, s[0:3], 0 offen
	;; [unrolled: 2-line block ×3, first 2 shown]
	buffer_load_dword v2, v136, s[0:3], 0 offen
	buffer_load_dword v3, v163, s[0:3], 0 offen
	s_nop 0
	buffer_load_dword v4, v113, s[0:3], 0 offen
	s_waitcnt vmcnt(2)
	ds_swizzle_b32 v2, v2 offset:swizzle(SWAP,8)
	ds_swizzle_b32 v0, v0 offset:swizzle(SWAP,16)
	s_waitcnt vmcnt(0)
	ds_swizzle_b32 v4, v4 offset:swizzle(SWAP,16)
	ds_swizzle_b32 v3, v3 offset:swizzle(SWAP,4)
	s_waitcnt lgkmcnt(2)
	buffer_store_dword v0, v114, s[0:3], 0 offen
	buffer_load_dword v0, v115, s[0:3], 0 offen
	s_waitcnt lgkmcnt(1)
	buffer_store_dword v4, v113, s[0:3], 0 offen
	buffer_store_dword v2, v136, s[0:3], 0 offen
	s_waitcnt lgkmcnt(0)
	buffer_store_dword v3, v163, s[0:3], 0 offen
	buffer_load_dword v2, v137, s[0:3], 0 offen
	s_nop 0
	buffer_load_dword v3, v164, s[0:3], 0 offen
	s_waitcnt vmcnt(5)
	ds_swizzle_b32 v0, v0 offset:swizzle(SWAP,16)
	s_waitcnt vmcnt(1)
	ds_swizzle_b32 v2, v2 offset:swizzle(SWAP,8)
	;; [unrolled: 2-line block ×3, first 2 shown]
	s_waitcnt lgkmcnt(2)
	buffer_store_dword v0, v115, s[0:3], 0 offen
	buffer_load_dword v0, v116, s[0:3], 0 offen
	s_waitcnt lgkmcnt(1)
	buffer_store_dword v2, v137, s[0:3], 0 offen
	s_waitcnt lgkmcnt(0)
	buffer_store_dword v3, v164, s[0:3], 0 offen
	buffer_load_dword v2, v138, s[0:3], 0 offen
	s_nop 0
	buffer_load_dword v3, v165, s[0:3], 0 offen
	buffer_load_dword v4, v194, s[0:3], 0 offen
	s_waitcnt vmcnt(2)
	ds_swizzle_b32 v2, v2 offset:swizzle(SWAP,8)
	ds_swizzle_b32 v0, v0 offset:swizzle(SWAP,16)
	s_waitcnt vmcnt(1)
	ds_swizzle_b32 v3, v3 offset:swizzle(SWAP,4)
	s_waitcnt vmcnt(0)
	ds_swizzle_b32 v4, v4 offset:swizzle(SWAP,2)
	s_waitcnt lgkmcnt(2)
	buffer_store_dword v0, v116, s[0:3], 0 offen
	buffer_load_dword v0, v117, s[0:3], 0 offen
	s_nop 0
	buffer_store_dword v2, v138, s[0:3], 0 offen
	s_waitcnt lgkmcnt(1)
	buffer_store_dword v3, v165, s[0:3], 0 offen
	s_waitcnt lgkmcnt(0)
	buffer_store_dword v4, v194, s[0:3], 0 offen
	buffer_load_dword v2, v139, s[0:3], 0 offen
	buffer_load_dword v3, v166, s[0:3], 0 offen
	s_nop 0
	buffer_load_dword v4, v195, s[0:3], 0 offen
	s_waitcnt vmcnt(6)
	ds_swizzle_b32 v0, v0 offset:swizzle(SWAP,16)
	s_waitcnt lgkmcnt(0)
	buffer_store_dword v0, v117, s[0:3], 0 offen
	buffer_load_dword v5, v118, s[0:3], 0 offen
	s_waitcnt vmcnt(4)
	ds_swizzle_b32 v0, v2 offset:swizzle(SWAP,8)
	s_waitcnt vmcnt(3)
	ds_swizzle_b32 v2, v3 offset:swizzle(SWAP,4)
	;; [unrolled: 2-line block ×3, first 2 shown]
	s_waitcnt lgkmcnt(2)
	buffer_store_dword v0, v139, s[0:3], 0 offen
	s_waitcnt lgkmcnt(1)
	buffer_store_dword v2, v166, s[0:3], 0 offen
	;; [unrolled: 2-line block ×3, first 2 shown]
	buffer_load_dword v2, v140, s[0:3], 0 offen
	s_nop 0
	buffer_load_dword v3, v167, s[0:3], 0 offen
	buffer_load_dword v4, v196, s[0:3], 0 offen
	;; [unrolled: 1-line block ×3, first 2 shown]
	s_waitcnt vmcnt(7)
	ds_swizzle_b32 v5, v5 offset:swizzle(SWAP,16)
	s_waitcnt vmcnt(3)
	ds_swizzle_b32 v2, v2 offset:swizzle(SWAP,8)
	s_waitcnt lgkmcnt(1)
	buffer_store_dword v5, v118, s[0:3], 0 offen
	buffer_load_dword v5, v119, s[0:3], 0 offen
	s_waitcnt vmcnt(4)
	ds_swizzle_b32 v3, v3 offset:swizzle(SWAP,4)
	s_waitcnt vmcnt(3)
	ds_swizzle_b32 v4, v4 offset:swizzle(SWAP,2)
	s_waitcnt lgkmcnt(2)
	buffer_store_dword v2, v140, s[0:3], 0 offen
	s_waitcnt lgkmcnt(1)
	buffer_store_dword v3, v167, s[0:3], 0 offen
	;; [unrolled: 2-line block ×3, first 2 shown]
	buffer_load_dword v3, v141, s[0:3], 0 offen
	s_nop 0
	buffer_load_dword v4, v168, s[0:3], 0 offen
	buffer_load_dword v6, v197, s[0:3], 0 offen
	;; [unrolled: 1-line block ×3, first 2 shown]
	s_waitcnt vmcnt(9)
	ds_swizzle_b32 v0, v0 offset:swizzle(SWAP,1)
	s_waitcnt vmcnt(7)
	ds_swizzle_b32 v5, v5 offset:swizzle(SWAP,16)
	;; [unrolled: 2-line block ×4, first 2 shown]
	s_waitcnt lgkmcnt(2)
	buffer_store_dword v5, v119, s[0:3], 0 offen
	buffer_load_dword v5, v120, s[0:3], 0 offen
	s_waitcnt vmcnt(3)
	ds_swizzle_b32 v6, v6 offset:swizzle(SWAP,2)
	s_waitcnt lgkmcnt(2)
	buffer_store_dword v3, v141, s[0:3], 0 offen
	s_waitcnt lgkmcnt(1)
	buffer_store_dword v4, v168, s[0:3], 0 offen
	;; [unrolled: 2-line block ×3, first 2 shown]
	buffer_load_dword v3, v142, s[0:3], 0 offen
	s_nop 0
	buffer_load_dword v6, v169, s[0:3], 0 offen
	buffer_load_dword v7, v198, s[0:3], 0 offen
	;; [unrolled: 1-line block ×3, first 2 shown]
	s_waitcnt vmcnt(9)
	ds_swizzle_b32 v2, v2 offset:swizzle(SWAP,1)
	s_waitcnt vmcnt(7)
	ds_swizzle_b32 v5, v5 offset:swizzle(SWAP,16)
	;; [unrolled: 2-line block ×5, first 2 shown]
	s_waitcnt lgkmcnt(3)
	buffer_store_dword v5, v120, s[0:3], 0 offen
	buffer_load_dword v5, v121, s[0:3], 0 offen
	s_waitcnt lgkmcnt(2)
	buffer_store_dword v3, v142, s[0:3], 0 offen
	s_waitcnt lgkmcnt(1)
	buffer_store_dword v6, v169, s[0:3], 0 offen
	;; [unrolled: 2-line block ×3, first 2 shown]
	buffer_load_dword v3, v143, s[0:3], 0 offen
	s_nop 0
	buffer_load_dword v7, v170, s[0:3], 0 offen
	buffer_load_dword v8, v199, s[0:3], 0 offen
	;; [unrolled: 1-line block ×3, first 2 shown]
	s_waitcnt vmcnt(9)
	ds_swizzle_b32 v4, v4 offset:swizzle(SWAP,1)
	s_waitcnt vmcnt(3)
	ds_swizzle_b32 v3, v3 offset:swizzle(SWAP,8)
	ds_swizzle_b32 v5, v5 offset:swizzle(SWAP,16)
	s_waitcnt vmcnt(2)
	ds_swizzle_b32 v7, v7 offset:swizzle(SWAP,4)
	s_waitcnt vmcnt(1)
	;; [unrolled: 2-line block ×3, first 2 shown]
	ds_swizzle_b32 v6, v6 offset:swizzle(SWAP,1)
	s_waitcnt lgkmcnt(3)
	buffer_store_dword v5, v121, s[0:3], 0 offen
	buffer_load_dword v5, v122, s[0:3], 0 offen
	s_nop 0
	buffer_store_dword v3, v143, s[0:3], 0 offen
	s_waitcnt lgkmcnt(2)
	buffer_store_dword v7, v170, s[0:3], 0 offen
	s_waitcnt lgkmcnt(1)
	buffer_store_dword v8, v199, s[0:3], 0 offen
	buffer_load_dword v3, v144, s[0:3], 0 offen
	buffer_load_dword v7, v171, s[0:3], 0 offen
	;; [unrolled: 1-line block ×3, first 2 shown]
	s_nop 0
	buffer_load_dword v8, v230, s[0:3], 0 offen
	s_waitcnt vmcnt(3)
	ds_swizzle_b32 v3, v3 offset:swizzle(SWAP,8)
	ds_swizzle_b32 v5, v5 offset:swizzle(SWAP,16)
	s_waitcnt vmcnt(2)
	ds_swizzle_b32 v7, v7 offset:swizzle(SWAP,4)
	s_waitcnt vmcnt(1)
	;; [unrolled: 2-line block ×3, first 2 shown]
	ds_swizzle_b32 v8, v8 offset:swizzle(SWAP,1)
	s_waitcnt lgkmcnt(3)
	buffer_store_dword v5, v122, s[0:3], 0 offen
	buffer_load_dword v5, v123, s[0:3], 0 offen
	s_nop 0
	buffer_store_dword v3, v144, s[0:3], 0 offen
	s_waitcnt lgkmcnt(2)
	buffer_store_dword v7, v171, s[0:3], 0 offen
	s_waitcnt lgkmcnt(1)
	buffer_store_dword v9, v200, s[0:3], 0 offen
	buffer_load_dword v3, v145, s[0:3], 0 offen
	buffer_load_dword v7, v172, s[0:3], 0 offen
	s_nop 0
	buffer_load_dword v9, v201, s[0:3], 0 offen
	buffer_load_dword v10, v231, s[0:3], 0 offen
	s_waitcnt vmcnt(3)
	ds_swizzle_b32 v3, v3 offset:swizzle(SWAP,8)
	ds_swizzle_b32 v5, v5 offset:swizzle(SWAP,16)
	s_waitcnt vmcnt(2)
	ds_swizzle_b32 v7, v7 offset:swizzle(SWAP,4)
	s_waitcnt vmcnt(1)
	;; [unrolled: 2-line block ×3, first 2 shown]
	ds_swizzle_b32 v10, v10 offset:swizzle(SWAP,1)
	s_waitcnt lgkmcnt(3)
	buffer_store_dword v5, v123, s[0:3], 0 offen
	buffer_load_dword v5, v124, s[0:3], 0 offen
	s_nop 0
	buffer_load_dword v11, v146, s[0:3], 0 offen
	s_nop 0
	buffer_store_dword v3, v145, s[0:3], 0 offen
	s_waitcnt lgkmcnt(2)
	buffer_store_dword v7, v172, s[0:3], 0 offen
	s_waitcnt lgkmcnt(1)
	buffer_store_dword v9, v201, s[0:3], 0 offen
	buffer_load_dword v3, v173, s[0:3], 0 offen
	buffer_load_dword v7, v202, s[0:3], 0 offen
	;; [unrolled: 1-line block ×3, first 2 shown]
	s_waitcnt vmcnt(7)
	ds_swizzle_b32 v5, v5 offset:swizzle(SWAP,16)
	s_waitcnt vmcnt(6)
	ds_swizzle_b32 v9, v11 offset:swizzle(SWAP,8)
	s_waitcnt lgkmcnt(1)
	buffer_store_dword v5, v124, s[0:3], 0 offen
	s_waitcnt lgkmcnt(0)
	buffer_store_dword v9, v146, s[0:3], 0 offen
	buffer_load_dword v5, v125, s[0:3], 0 offen
	s_nop 0
	buffer_load_dword v9, v147, s[0:3], 0 offen
	s_waitcnt vmcnt(6)
	ds_swizzle_b32 v3, v3 offset:swizzle(SWAP,4)
	s_waitcnt vmcnt(5)
	ds_swizzle_b32 v7, v7 offset:swizzle(SWAP,2)
	s_waitcnt lgkmcnt(1)
	buffer_store_dword v3, v173, s[0:3], 0 offen
	s_waitcnt lgkmcnt(0)
	buffer_store_dword v7, v202, s[0:3], 0 offen
	buffer_load_dword v3, v174, s[0:3], 0 offen
	s_nop 0
	buffer_load_dword v7, v203, s[0:3], 0 offen
	buffer_load_dword v14, v233, s[0:3], 0 offen
	s_waitcnt vmcnt(9)
	ds_swizzle_b32 v12, v12 offset:swizzle(SWAP,1)
	s_waitcnt vmcnt(6)
	ds_swizzle_b32 v5, v5 offset:swizzle(SWAP,16)
	s_waitcnt vmcnt(5)
	ds_swizzle_b32 v9, v9 offset:swizzle(SWAP,8)
	s_waitcnt lgkmcnt(1)
	buffer_store_dword v5, v125, s[0:3], 0 offen
	s_waitcnt lgkmcnt(0)
	buffer_store_dword v9, v147, s[0:3], 0 offen
	buffer_load_dword v5, v126, s[0:3], 0 offen
	s_nop 0
	buffer_load_dword v9, v148, s[0:3], 0 offen
	s_waitcnt vmcnt(6)
	ds_swizzle_b32 v3, v3 offset:swizzle(SWAP,4)
	s_waitcnt vmcnt(5)
	ds_swizzle_b32 v7, v7 offset:swizzle(SWAP,2)
	s_waitcnt lgkmcnt(1)
	buffer_store_dword v3, v174, s[0:3], 0 offen
	s_waitcnt lgkmcnt(0)
	buffer_store_dword v7, v203, s[0:3], 0 offen
	buffer_load_dword v3, v175, s[0:3], 0 offen
	s_nop 0
	buffer_load_dword v7, v204, s[0:3], 0 offen
	buffer_load_dword v17, v234, s[0:3], 0 offen
	s_waitcnt vmcnt(9)
	ds_swizzle_b32 v14, v14 offset:swizzle(SWAP,1)
	;; [unrolled: 25-line block ×6, first 2 shown]
	s_waitcnt vmcnt(5)
	ds_swizzle_b32 v9, v9 offset:swizzle(SWAP,8)
	s_waitcnt lgkmcnt(1)
	buffer_store_dword v5, v154, s[0:3], 0 offen
	buffer_load_dword v5, v155, s[0:3], 0 offen
	s_waitcnt vmcnt(4)
	ds_swizzle_b32 v3, v3 offset:swizzle(SWAP,4)
	s_waitcnt vmcnt(3)
	ds_swizzle_b32 v7, v7 offset:swizzle(SWAP,2)
	s_waitcnt lgkmcnt(2)
	buffer_store_dword v9, v152, s[0:3], 0 offen
	s_waitcnt lgkmcnt(1)
	buffer_store_dword v3, v179, s[0:3], 0 offen
	;; [unrolled: 2-line block ×3, first 2 shown]
	buffer_load_dword v3, v180, s[0:3], 0 offen
	s_nop 0
	buffer_load_dword v7, v209, s[0:3], 0 offen
	buffer_load_dword v31, v239, s[0:3], 0 offen
	;; [unrolled: 1-line block ×3, first 2 shown]
	s_waitcnt vmcnt(9)
	ds_swizzle_b32 v29, v29 offset:swizzle(SWAP,1)
	s_waitcnt vmcnt(7)
	ds_swizzle_b32 v5, v5 offset:swizzle(SWAP,8)
	;; [unrolled: 2-line block ×4, first 2 shown]
	s_waitcnt lgkmcnt(2)
	buffer_store_dword v5, v155, s[0:3], 0 offen
	buffer_load_dword v5, v156, s[0:3], 0 offen
	s_waitcnt vmcnt(2)
	ds_swizzle_b32 v9, v9 offset:swizzle(SWAP,8)
	s_waitcnt lgkmcnt(0)
	buffer_store_dword v9, v153, s[0:3], 0 offen
	buffer_store_dword v3, v180, s[0:3], 0 offen
	;; [unrolled: 1-line block ×3, first 2 shown]
	buffer_load_dword v3, v181, s[0:3], 0 offen
	s_nop 0
	buffer_load_dword v7, v210, s[0:3], 0 offen
	buffer_load_dword v28, v240, s[0:3], 0 offen
	ds_swizzle_b32 v31, v31 offset:swizzle(SWAP,1)
	s_waitcnt vmcnt(6)
	ds_swizzle_b32 v5, v5 offset:swizzle(SWAP,8)
	s_waitcnt lgkmcnt(0)
	buffer_store_dword v5, v156, s[0:3], 0 offen
	buffer_load_dword v5, v157, s[0:3], 0 offen
	s_waitcnt vmcnt(4)
	ds_swizzle_b32 v3, v3 offset:swizzle(SWAP,4)
	s_waitcnt vmcnt(3)
	ds_swizzle_b32 v7, v7 offset:swizzle(SWAP,2)
	s_waitcnt lgkmcnt(1)
	buffer_store_dword v3, v181, s[0:3], 0 offen
	s_waitcnt lgkmcnt(0)
	buffer_store_dword v7, v210, s[0:3], 0 offen
	buffer_load_dword v3, v182, s[0:3], 0 offen
	s_nop 0
	buffer_load_dword v7, v211, s[0:3], 0 offen
	buffer_load_dword v30, v241, s[0:3], 0 offen
	s_waitcnt vmcnt(7)
	ds_swizzle_b32 v28, v28 offset:swizzle(SWAP,1)
	s_waitcnt vmcnt(5)
	ds_swizzle_b32 v5, v5 offset:swizzle(SWAP,8)
	s_waitcnt lgkmcnt(0)
	buffer_store_dword v5, v157, s[0:3], 0 offen
	buffer_load_dword v5, v158, s[0:3], 0 offen
	s_waitcnt vmcnt(4)
	ds_swizzle_b32 v3, v3 offset:swizzle(SWAP,4)
	s_waitcnt vmcnt(3)
	ds_swizzle_b32 v7, v7 offset:swizzle(SWAP,2)
	s_waitcnt lgkmcnt(1)
	buffer_store_dword v3, v182, s[0:3], 0 offen
	s_waitcnt lgkmcnt(0)
	buffer_store_dword v7, v211, s[0:3], 0 offen
	buffer_load_dword v3, v183, s[0:3], 0 offen
	s_nop 0
	buffer_load_dword v7, v212, s[0:3], 0 offen
	buffer_load_dword v26, v242, s[0:3], 0 offen
	s_waitcnt vmcnt(5)
	ds_swizzle_b32 v5, v5 offset:swizzle(SWAP,8)
	s_waitcnt lgkmcnt(0)
	buffer_store_dword v5, v158, s[0:3], 0 offen
	buffer_load_dword v5, v159, s[0:3], 0 offen
	s_waitcnt vmcnt(4)
	ds_swizzle_b32 v3, v3 offset:swizzle(SWAP,4)
	s_waitcnt vmcnt(3)
	ds_swizzle_b32 v7, v7 offset:swizzle(SWAP,2)
	s_waitcnt lgkmcnt(1)
	buffer_store_dword v3, v183, s[0:3], 0 offen
	s_waitcnt lgkmcnt(0)
	buffer_store_dword v7, v212, s[0:3], 0 offen
	buffer_load_dword v3, v184, s[0:3], 0 offen
	s_nop 0
	buffer_load_dword v7, v213, s[0:3], 0 offen
	buffer_load_dword v27, v243, s[0:3], 0 offen
	s_waitcnt vmcnt(7)
	ds_swizzle_b32 v26, v26 offset:swizzle(SWAP,1)
	s_waitcnt vmcnt(5)
	ds_swizzle_b32 v5, v5 offset:swizzle(SWAP,8)
	s_waitcnt lgkmcnt(0)
	buffer_store_dword v5, v159, s[0:3], 0 offen
	buffer_load_dword v5, v160, s[0:3], 0 offen
	s_waitcnt vmcnt(4)
	ds_swizzle_b32 v3, v3 offset:swizzle(SWAP,4)
	s_waitcnt vmcnt(3)
	ds_swizzle_b32 v7, v7 offset:swizzle(SWAP,2)
	s_waitcnt lgkmcnt(1)
	buffer_store_dword v3, v184, s[0:3], 0 offen
	s_waitcnt lgkmcnt(0)
	buffer_store_dword v7, v213, s[0:3], 0 offen
	buffer_load_dword v3, v185, s[0:3], 0 offen
	s_nop 0
	buffer_load_dword v7, v214, s[0:3], 0 offen
	buffer_load_dword v36, v244, s[0:3], 0 offen
	s_waitcnt vmcnt(5)
	ds_swizzle_b32 v5, v5 offset:swizzle(SWAP,8)
	s_waitcnt lgkmcnt(0)
	buffer_store_dword v5, v160, s[0:3], 0 offen
	buffer_load_dword v5, v161, s[0:3], 0 offen
	s_nop 0
	buffer_load_dword v9, v186, s[0:3], 0 offen
	s_waitcnt vmcnt(5)
	ds_swizzle_b32 v3, v3 offset:swizzle(SWAP,4)
	s_waitcnt vmcnt(4)
	ds_swizzle_b32 v7, v7 offset:swizzle(SWAP,2)
	s_waitcnt lgkmcnt(1)
	buffer_store_dword v3, v185, s[0:3], 0 offen
	s_waitcnt lgkmcnt(0)
	buffer_store_dword v7, v214, s[0:3], 0 offen
	buffer_load_dword v3, v215, s[0:3], 0 offen
	buffer_load_dword v37, v245, s[0:3], 0 offen
	s_waitcnt vmcnt(5)
	ds_swizzle_b32 v5, v5 offset:swizzle(SWAP,8)
	s_waitcnt vmcnt(4)
	ds_swizzle_b32 v7, v9 offset:swizzle(SWAP,4)
	s_waitcnt lgkmcnt(1)
	buffer_store_dword v5, v161, s[0:3], 0 offen
	s_waitcnt lgkmcnt(0)
	buffer_store_dword v7, v186, s[0:3], 0 offen
	buffer_load_dword v5, v187, s[0:3], 0 offen
	s_nop 0
	buffer_load_dword v7, v190, s[0:3], 0 offen
	s_waitcnt vmcnt(5)
	ds_swizzle_b32 v3, v3 offset:swizzle(SWAP,2)
	s_waitcnt lgkmcnt(0)
	buffer_store_dword v3, v215, s[0:3], 0 offen
	buffer_load_dword v3, v216, s[0:3], 0 offen
	s_nop 0
	buffer_load_dword v24, v246, s[0:3], 0 offen
	s_waitcnt vmcnt(4)
	ds_swizzle_b32 v5, v5 offset:swizzle(SWAP,4)
	s_waitcnt vmcnt(3)
	ds_swizzle_b32 v7, v7 offset:swizzle(SWAP,4)
	s_waitcnt lgkmcnt(1)
	buffer_store_dword v5, v187, s[0:3], 0 offen
	s_waitcnt lgkmcnt(0)
	buffer_store_dword v7, v190, s[0:3], 0 offen
	buffer_load_dword v5, v188, s[0:3], 0 offen
	s_nop 0
	buffer_load_dword v7, v191, s[0:3], 0 offen
	s_waitcnt vmcnt(5)
	ds_swizzle_b32 v3, v3 offset:swizzle(SWAP,2)
	s_waitcnt vmcnt(4)
	ds_swizzle_b32 v24, v24 offset:swizzle(SWAP,1)
	s_waitcnt lgkmcnt(1)
	buffer_store_dword v3, v216, s[0:3], 0 offen
	buffer_load_dword v9, v217, s[0:3], 0 offen
	buffer_load_dword v25, v247, s[0:3], 0 offen
	s_waitcnt vmcnt(4)
	ds_swizzle_b32 v3, v5 offset:swizzle(SWAP,4)
	s_waitcnt vmcnt(3)
	ds_swizzle_b32 v5, v7 offset:swizzle(SWAP,4)
	s_waitcnt lgkmcnt(1)
	buffer_store_dword v3, v188, s[0:3], 0 offen
	s_waitcnt lgkmcnt(0)
	buffer_store_dword v5, v191, s[0:3], 0 offen
	buffer_load_dword v11, v192, s[0:3], 0 offen
	buffer_load_dword v19, v189, s[0:3], 0 offen
	s_waitcnt vmcnt(5)
	ds_swizzle_b32 v9, v9 offset:swizzle(SWAP,2)
	buffer_store_dword v0, v226, s[0:3], 0 offen
	buffer_load_dword v0, off, s[0:3], 0
	s_nop 0
	buffer_load_dword v65, off, s[0:3], 0 offset:4
	s_waitcnt vmcnt(3)
	ds_swizzle_b32 v19, v19 offset:swizzle(SWAP,4)
	buffer_store_dword v2, v227, s[0:3], 0 offen
	buffer_load_dword v2, off, s[0:3], 0 offset:8
	s_nop 0
	buffer_load_dword v3, off, s[0:3], 0 offset:12
	s_nop 0
	buffer_store_dword v4, v228, s[0:3], 0 offen
	buffer_load_dword v4, off, s[0:3], 0 offset:16
	s_nop 0
	buffer_load_dword v5, off, s[0:3], 0 offset:20
	s_nop 0
	buffer_store_dword v6, v229, s[0:3], 0 offen
	buffer_load_dword v6, off, s[0:3], 0 offset:24
	s_nop 0
	buffer_load_dword v7, off, s[0:3], 0 offset:28
	s_waitcnt lgkmcnt(1)
	buffer_store_dword v9, v217, s[0:3], 0 offen
	buffer_load_dword v21, v218, s[0:3], 0 offen
	buffer_load_dword v38, v248, s[0:3], 0 offen
	ds_swizzle_b32 v9, v11 offset:swizzle(SWAP,4)
	buffer_store_dword v8, v230, s[0:3], 0 offen
	s_waitcnt lgkmcnt(0)
	buffer_store_dword v9, v192, s[0:3], 0 offen
	buffer_load_dword v22, v193, s[0:3], 0 offen
	buffer_load_dword v8, off, s[0:3], 0 offset:32
	s_nop 0
	buffer_load_dword v9, off, s[0:3], 0 offset:36
	s_waitcnt vmcnt(6)
	ds_swizzle_b32 v21, v21 offset:swizzle(SWAP,2)
	buffer_store_dword v10, v231, s[0:3], 0 offen
	buffer_load_dword v10, off, s[0:3], 0 offset:40
	s_nop 0
	buffer_load_dword v11, off, s[0:3], 0 offset:44
	s_nop 0
	buffer_store_dword v12, v232, s[0:3], 0 offen
	buffer_load_dword v12, off, s[0:3], 0 offset:48
	s_nop 0
	buffer_load_dword v13, off, s[0:3], 0 offset:52
	s_nop 0
	;; [unrolled: 5-line block ×3, first 2 shown]
	buffer_store_dword v17, v234, s[0:3], 0 offen
	buffer_load_dword v17, off, s[0:3], 0 offset:68
	s_nop 0
	buffer_store_dword v19, v189, s[0:3], 0 offen
	s_waitcnt lgkmcnt(0)
	buffer_store_dword v21, v218, s[0:3], 0 offen
	buffer_load_dword v32, v220, s[0:3], 0 offen
	buffer_load_dword v33, v222, s[0:3], 0 offen
	;; [unrolled: 1-line block ×4, first 2 shown]
	s_waitcnt vmcnt(19)
	ds_swizzle_b32 v19, v22 offset:swizzle(SWAP,4)
	buffer_store_dword v16, v236, s[0:3], 0 offen
	ds_swizzle_b32 v16, v20 offset:swizzle(SWAP,1)
	buffer_store_dword v18, v235, s[0:3], 0 offen
	buffer_load_dword v21, off, s[0:3], 0 offset:84
	s_waitcnt vmcnt(6)
	ds_swizzle_b32 v32, v32 offset:swizzle(SWAP,2)
	s_waitcnt lgkmcnt(2)
	buffer_store_dword v19, v193, s[0:3], 0 offen
	buffer_load_dword v35, v224, s[0:3], 0 offen
	s_waitcnt vmcnt(7)
	ds_swizzle_b32 v33, v33 offset:swizzle(SWAP,2)
	s_waitcnt vmcnt(5)
	ds_swizzle_b32 v34, v34 offset:swizzle(SWAP,2)
	s_waitcnt lgkmcnt(3)
	buffer_store_dword v16, v237, s[0:3], 0 offen
	buffer_load_dword v19, off, s[0:3], 0 offset:76
	buffer_load_dword v23, off, s[0:3], 0 offset:92
	buffer_load_dword v22, off, s[0:3], 0 offset:88
	buffer_load_dword v20, off, s[0:3], 0 offset:80
	buffer_load_dword v18, off, s[0:3], 0 offset:72
	s_nop 0
	buffer_load_dword v16, off, s[0:3], 0 offset:64
	s_nop 0
	buffer_store_dword v29, v238, s[0:3], 0 offen
	buffer_store_dword v31, v239, s[0:3], 0 offen
	buffer_load_dword v29, off, s[0:3], 0 offset:100
	s_nop 0
	buffer_load_dword v31, off, s[0:3], 0 offset:108
	s_waitcnt lgkmcnt(2)
	buffer_store_dword v32, v220, s[0:3], 0 offen
	s_waitcnt lgkmcnt(1)
	buffer_store_dword v33, v222, s[0:3], 0 offen
	;; [unrolled: 2-line block ×3, first 2 shown]
	buffer_load_dword v40, v221, s[0:3], 0 offen
	buffer_load_dword v41, v250, s[0:3], 0 offen
	;; [unrolled: 1-line block ×3, first 2 shown]
	s_waitcnt vmcnt(17)
	ds_swizzle_b32 v32, v35 offset:swizzle(SWAP,2)
	buffer_store_dword v28, v240, s[0:3], 0 offen
	ds_swizzle_b32 v28, v30 offset:swizzle(SWAP,1)
	buffer_load_dword v33, off, s[0:3], 0 offset:116
	s_waitcnt lgkmcnt(1)
	buffer_store_dword v32, v224, s[0:3], 0 offen
	buffer_load_dword v43, v225, s[0:3], 0 offen
	s_waitcnt lgkmcnt(0)
	buffer_store_dword v28, v241, s[0:3], 0 offen
	buffer_load_dword v35, off, s[0:3], 0 offset:124
	buffer_load_dword v34, off, s[0:3], 0 offset:120
	;; [unrolled: 1-line block ×4, first 2 shown]
	s_nop 0
	buffer_load_dword v28, off, s[0:3], 0 offset:96
	s_nop 0
	buffer_store_dword v26, v242, s[0:3], 0 offen
	ds_swizzle_b32 v26, v27 offset:swizzle(SWAP,1)
	s_waitcnt vmcnt(11)
	ds_swizzle_b32 v27, v42 offset:swizzle(SWAP,2)
	buffer_load_dword v53, off, s[0:3], 0 offset:132
	s_waitcnt vmcnt(8)
	ds_swizzle_b32 v42, v43 offset:swizzle(SWAP,2)
	s_waitcnt lgkmcnt(2)
	buffer_store_dword v26, v243, s[0:3], 0 offen
	buffer_load_dword v55, off, s[0:3], 0 offset:140
	ds_swizzle_b32 v26, v36 offset:swizzle(SWAP,1)
	s_waitcnt lgkmcnt(0)
	buffer_store_dword v26, v244, s[0:3], 0 offen
	buffer_load_dword v45, off, s[0:3], 0 offset:148
	ds_swizzle_b32 v26, v37 offset:swizzle(SWAP,1)
	s_waitcnt lgkmcnt(0)
	buffer_store_dword v26, v245, s[0:3], 0 offen
	ds_swizzle_b32 v26, v40 offset:swizzle(SWAP,2)
	s_waitcnt lgkmcnt(0)
	buffer_store_dword v26, v221, s[0:3], 0 offen
	buffer_store_dword v27, v223, s[0:3], 0 offen
	buffer_load_dword v26, v251, s[0:3], 0 offen
	s_nop 0
	buffer_load_dword v27, v252, s[0:3], 0 offen
	buffer_load_dword v36, v253, s[0:3], 0 offen
	;; [unrolled: 1-line block ×4, first 2 shown]
	s_nop 0
	buffer_store_dword v42, v225, s[0:3], 0 offen
	buffer_load_dword v42, v66, s[0:3], 0 offen
	s_nop 0
	buffer_load_dword v68, v67, s[0:3], 0 offen
	buffer_load_dword v47, off, s[0:3], 0 offset:156
	buffer_load_dword v46, off, s[0:3], 0 offset:152
	buffer_load_dword v44, off, s[0:3], 0 offset:144
	buffer_load_dword v54, off, s[0:3], 0 offset:136
	buffer_load_dword v52, off, s[0:3], 0 offset:128
	s_nop 0
	buffer_store_dword v24, v246, s[0:3], 0 offen
	ds_swizzle_b32 v24, v25 offset:swizzle(SWAP,1)
	buffer_load_dword v61, off, s[0:3], 0 offset:164
	s_waitcnt vmcnt(13)
	ds_swizzle_b32 v25, v27 offset:swizzle(SWAP,1)
	s_waitcnt lgkmcnt(1)
	buffer_store_dword v24, v247, s[0:3], 0 offen
	buffer_load_dword v63, off, s[0:3], 0 offset:172
	ds_swizzle_b32 v24, v38 offset:swizzle(SWAP,1)
	s_waitcnt lgkmcnt(0)
	buffer_store_dword v24, v248, s[0:3], 0 offen
	buffer_load_dword v57, off, s[0:3], 0 offset:180
	ds_swizzle_b32 v24, v39 offset:swizzle(SWAP,1)
	s_waitcnt lgkmcnt(0)
	buffer_store_dword v24, v249, s[0:3], 0 offen
	ds_swizzle_b32 v24, v41 offset:swizzle(SWAP,1)
	buffer_load_dword v58, off, s[0:3], 0 offset:184
	buffer_load_dword v59, off, s[0:3], 0 offset:188
	;; [unrolled: 1-line block ×5, first 2 shown]
	s_waitcnt lgkmcnt(0)
	buffer_store_dword v24, v250, s[0:3], 0 offen
	ds_swizzle_b32 v24, v26 offset:swizzle(SWAP,1)
	s_waitcnt lgkmcnt(0)
	buffer_store_dword v24, v251, s[0:3], 0 offen
	buffer_store_dword v25, v252, s[0:3], 0 offen
	s_waitcnt vmcnt(25)
	ds_swizzle_b32 v24, v36 offset:swizzle(SWAP,1)
	s_waitcnt vmcnt(24)
	ds_swizzle_b32 v25, v37 offset:swizzle(SWAP,1)
	s_waitcnt vmcnt(23)
	ds_swizzle_b32 v26, v40 offset:swizzle(SWAP,1)
	buffer_load_dword v48, off, s[0:3], 0 offset:192
	buffer_load_dword v49, off, s[0:3], 0 offset:196
	s_waitcnt lgkmcnt(2)
	buffer_store_dword v24, v253, s[0:3], 0 offen
	s_waitcnt lgkmcnt(1)
	buffer_store_dword v25, v254, s[0:3], 0 offen
	;; [unrolled: 2-line block ×3, first 2 shown]
	s_waitcnt vmcnt(26)
	ds_swizzle_b32 v24, v42 offset:swizzle(SWAP,1)
	buffer_load_dword v50, off, s[0:3], 0 offset:200
	buffer_load_dword v51, off, s[0:3], 0 offset:204
	s_waitcnt lgkmcnt(0)
	buffer_store_dword v24, v66, s[0:3], 0 offen
	s_waitcnt vmcnt(28)
	ds_swizzle_b32 v24, v68 offset:swizzle(SWAP,1)
	buffer_load_dword v40, off, s[0:3], 0 offset:208
	buffer_load_dword v41, off, s[0:3], 0 offset:212
	;; [unrolled: 1-line block ×4, first 2 shown]
	s_waitcnt lgkmcnt(0)
	buffer_store_dword v24, v67, s[0:3], 0 offen
	buffer_load_dword v36, off, s[0:3], 0 offset:224
	buffer_load_dword v37, off, s[0:3], 0 offset:228
	;; [unrolled: 1-line block ×4, first 2 shown]
	s_nop 0
	buffer_load_dword v24, off, s[0:3], 0 offset:240
	buffer_load_dword v25, off, s[0:3], 0 offset:244
	;; [unrolled: 1-line block ×4, first 2 shown]
	; wave barrier
	s_cbranch_scc1 .LBB109_2
; %bb.3:
	v_mov_b32_e32 v1, v65
	s_branch .LBB109_5
.LBB109_4:
	v_pk_mov_b32 v[0:1], v[64:65], v[64:65] op_sel:[0,1]
.LBB109_5:
	s_load_dwordx2 s[4:5], s[4:5], 0x0
	v_lshl_or_b32 v64, s8, 14, v64
	v_mov_b32_e32 v65, 0
	v_lshlrev_b64 v[64:65], 2, v[64:65]
	s_waitcnt lgkmcnt(0)
	v_mov_b32_e32 v66, s5
	v_add_co_u32_e32 v64, vcc, s4, v64
	v_addc_co_u32_e32 v65, vcc, v66, v65, vcc
	global_store_dwordx4 v[64:65], v[0:3], off
	global_store_dwordx4 v[64:65], v[4:7], off offset:16
	global_store_dwordx4 v[64:65], v[8:11], off offset:32
	;; [unrolled: 1-line block ×7, first 2 shown]
	s_waitcnt vmcnt(44)
	global_store_dwordx4 v[64:65], v[52:55], off offset:128
	global_store_dwordx4 v[64:65], v[44:47], off offset:144
	s_waitcnt vmcnt(34)
	global_store_dwordx4 v[64:65], v[60:63], off offset:160
	global_store_dwordx4 v[64:65], v[56:59], off offset:176
	s_waitcnt vmcnt(26)
	global_store_dwordx4 v[64:65], v[48:51], off offset:192
	s_waitcnt vmcnt(22)
	;; [unrolled: 2-line block ×4, first 2 shown]
	global_store_dwordx4 v[64:65], v[24:27], off offset:240
	s_endpgm
	.section	.rodata,"a",@progbits
	.p2align	6, 0x0
	.amdhsa_kernel _Z20warp_exchange_kernelILj256ELj64ELj64EN6common25StripedToBlockedShuffleOpEiEvPT3_j
		.amdhsa_group_segment_fixed_size 0
		.amdhsa_private_segment_fixed_size 272
		.amdhsa_kernarg_size 12
		.amdhsa_user_sgpr_count 8
		.amdhsa_user_sgpr_private_segment_buffer 1
		.amdhsa_user_sgpr_dispatch_ptr 0
		.amdhsa_user_sgpr_queue_ptr 0
		.amdhsa_user_sgpr_kernarg_segment_ptr 1
		.amdhsa_user_sgpr_dispatch_id 0
		.amdhsa_user_sgpr_flat_scratch_init 1
		.amdhsa_user_sgpr_kernarg_preload_length 0
		.amdhsa_user_sgpr_kernarg_preload_offset 0
		.amdhsa_user_sgpr_private_segment_size 0
		.amdhsa_uses_dynamic_stack 0
		.amdhsa_system_sgpr_private_segment_wavefront_offset 1
		.amdhsa_system_sgpr_workgroup_id_x 1
		.amdhsa_system_sgpr_workgroup_id_y 0
		.amdhsa_system_sgpr_workgroup_id_z 0
		.amdhsa_system_sgpr_workgroup_info 0
		.amdhsa_system_vgpr_workitem_id 0
		.amdhsa_next_free_vgpr 259
		.amdhsa_next_free_sgpr 18
		.amdhsa_accum_offset 256
		.amdhsa_reserve_vcc 1
		.amdhsa_reserve_flat_scratch 0
		.amdhsa_float_round_mode_32 0
		.amdhsa_float_round_mode_16_64 0
		.amdhsa_float_denorm_mode_32 3
		.amdhsa_float_denorm_mode_16_64 3
		.amdhsa_dx10_clamp 1
		.amdhsa_ieee_mode 1
		.amdhsa_fp16_overflow 0
		.amdhsa_tg_split 0
		.amdhsa_exception_fp_ieee_invalid_op 0
		.amdhsa_exception_fp_denorm_src 0
		.amdhsa_exception_fp_ieee_div_zero 0
		.amdhsa_exception_fp_ieee_overflow 0
		.amdhsa_exception_fp_ieee_underflow 0
		.amdhsa_exception_fp_ieee_inexact 0
		.amdhsa_exception_int_div_zero 0
	.end_amdhsa_kernel
	.section	.text._Z20warp_exchange_kernelILj256ELj64ELj64EN6common25StripedToBlockedShuffleOpEiEvPT3_j,"axG",@progbits,_Z20warp_exchange_kernelILj256ELj64ELj64EN6common25StripedToBlockedShuffleOpEiEvPT3_j,comdat
.Lfunc_end109:
	.size	_Z20warp_exchange_kernelILj256ELj64ELj64EN6common25StripedToBlockedShuffleOpEiEvPT3_j, .Lfunc_end109-_Z20warp_exchange_kernelILj256ELj64ELj64EN6common25StripedToBlockedShuffleOpEiEvPT3_j
                                        ; -- End function
	.section	.AMDGPU.csdata,"",@progbits
; Kernel info:
; codeLenInByte = 10584
; NumSgprs: 22
; NumVgprs: 256
; NumAgprs: 3
; TotalNumVgprs: 259
; ScratchSize: 272
; MemoryBound: 0
; FloatMode: 240
; IeeeMode: 1
; LDSByteSize: 0 bytes/workgroup (compile time only)
; SGPRBlocks: 2
; VGPRBlocks: 32
; NumSGPRsForWavesPerEU: 22
; NumVGPRsForWavesPerEU: 259
; AccumOffset: 256
; Occupancy: 1
; WaveLimiterHint : 0
; COMPUTE_PGM_RSRC2:SCRATCH_EN: 1
; COMPUTE_PGM_RSRC2:USER_SGPR: 8
; COMPUTE_PGM_RSRC2:TRAP_HANDLER: 0
; COMPUTE_PGM_RSRC2:TGID_X_EN: 1
; COMPUTE_PGM_RSRC2:TGID_Y_EN: 0
; COMPUTE_PGM_RSRC2:TGID_Z_EN: 0
; COMPUTE_PGM_RSRC2:TIDIG_COMP_CNT: 0
; COMPUTE_PGM_RSRC3_GFX90A:ACCUM_OFFSET: 63
; COMPUTE_PGM_RSRC3_GFX90A:TG_SPLIT: 0
	.section	.text._Z20warp_exchange_kernelILj256ELj1ELj64E18ScatterToStripedOpiEvPT3_j,"axG",@progbits,_Z20warp_exchange_kernelILj256ELj1ELj64E18ScatterToStripedOpiEvPT3_j,comdat
	.protected	_Z20warp_exchange_kernelILj256ELj1ELj64E18ScatterToStripedOpiEvPT3_j ; -- Begin function _Z20warp_exchange_kernelILj256ELj1ELj64E18ScatterToStripedOpiEvPT3_j
	.globl	_Z20warp_exchange_kernelILj256ELj1ELj64E18ScatterToStripedOpiEvPT3_j
	.p2align	8
	.type	_Z20warp_exchange_kernelILj256ELj1ELj64E18ScatterToStripedOpiEvPT3_j,@function
_Z20warp_exchange_kernelILj256ELj1ELj64E18ScatterToStripedOpiEvPT3_j: ; @_Z20warp_exchange_kernelILj256ELj1ELj64E18ScatterToStripedOpiEvPT3_j
; %bb.0:
	s_load_dword s0, s[4:5], 0x8
	s_waitcnt lgkmcnt(0)
	s_cmp_eq_u32 s0, 0
	s_cbranch_scc1 .LBB110_3
; %bb.1:
	v_lshlrev_b32_e32 v2, 2, v0
	v_not_b32_e32 v1, v0
	v_and_b32_e32 v3, 0x300, v2
	v_mbcnt_lo_u32_b32 v2, -1, 0
	v_and_b32_e32 v1, 63, v1
	v_mbcnt_hi_u32_b32 v4, -1, v2
	v_lshl_or_b32 v2, v1, 2, v3
	v_lshl_add_u32 v3, v4, 2, v3
	v_mov_b32_e32 v1, v0
.LBB110_2:                              ; =>This Inner Loop Header: Depth=1
	s_waitcnt lgkmcnt(0)
	ds_write_b32 v2, v1
	; wave barrier
	ds_read_b32 v1, v3
	s_add_i32 s0, s0, -1
	s_cmp_lg_u32 s0, 0
	; wave barrier
	s_cbranch_scc1 .LBB110_2
	s_branch .LBB110_4
.LBB110_3:
	v_mov_b32_e32 v1, v0
.LBB110_4:
	s_load_dwordx2 s[0:1], s[4:5], 0x0
	v_lshl_or_b32 v2, s6, 8, v0
	v_mov_b32_e32 v3, 0
	v_lshlrev_b64 v[2:3], 2, v[2:3]
	s_waitcnt lgkmcnt(0)
	v_mov_b32_e32 v0, s1
	v_add_co_u32_e32 v2, vcc, s0, v2
	v_addc_co_u32_e32 v3, vcc, v0, v3, vcc
	global_store_dword v[2:3], v1, off
	s_endpgm
	.section	.rodata,"a",@progbits
	.p2align	6, 0x0
	.amdhsa_kernel _Z20warp_exchange_kernelILj256ELj1ELj64E18ScatterToStripedOpiEvPT3_j
		.amdhsa_group_segment_fixed_size 1024
		.amdhsa_private_segment_fixed_size 0
		.amdhsa_kernarg_size 12
		.amdhsa_user_sgpr_count 6
		.amdhsa_user_sgpr_private_segment_buffer 1
		.amdhsa_user_sgpr_dispatch_ptr 0
		.amdhsa_user_sgpr_queue_ptr 0
		.amdhsa_user_sgpr_kernarg_segment_ptr 1
		.amdhsa_user_sgpr_dispatch_id 0
		.amdhsa_user_sgpr_flat_scratch_init 0
		.amdhsa_user_sgpr_kernarg_preload_length 0
		.amdhsa_user_sgpr_kernarg_preload_offset 0
		.amdhsa_user_sgpr_private_segment_size 0
		.amdhsa_uses_dynamic_stack 0
		.amdhsa_system_sgpr_private_segment_wavefront_offset 0
		.amdhsa_system_sgpr_workgroup_id_x 1
		.amdhsa_system_sgpr_workgroup_id_y 0
		.amdhsa_system_sgpr_workgroup_id_z 0
		.amdhsa_system_sgpr_workgroup_info 0
		.amdhsa_system_vgpr_workitem_id 0
		.amdhsa_next_free_vgpr 5
		.amdhsa_next_free_sgpr 7
		.amdhsa_accum_offset 8
		.amdhsa_reserve_vcc 1
		.amdhsa_reserve_flat_scratch 0
		.amdhsa_float_round_mode_32 0
		.amdhsa_float_round_mode_16_64 0
		.amdhsa_float_denorm_mode_32 3
		.amdhsa_float_denorm_mode_16_64 3
		.amdhsa_dx10_clamp 1
		.amdhsa_ieee_mode 1
		.amdhsa_fp16_overflow 0
		.amdhsa_tg_split 0
		.amdhsa_exception_fp_ieee_invalid_op 0
		.amdhsa_exception_fp_denorm_src 0
		.amdhsa_exception_fp_ieee_div_zero 0
		.amdhsa_exception_fp_ieee_overflow 0
		.amdhsa_exception_fp_ieee_underflow 0
		.amdhsa_exception_fp_ieee_inexact 0
		.amdhsa_exception_int_div_zero 0
	.end_amdhsa_kernel
	.section	.text._Z20warp_exchange_kernelILj256ELj1ELj64E18ScatterToStripedOpiEvPT3_j,"axG",@progbits,_Z20warp_exchange_kernelILj256ELj1ELj64E18ScatterToStripedOpiEvPT3_j,comdat
.Lfunc_end110:
	.size	_Z20warp_exchange_kernelILj256ELj1ELj64E18ScatterToStripedOpiEvPT3_j, .Lfunc_end110-_Z20warp_exchange_kernelILj256ELj1ELj64E18ScatterToStripedOpiEvPT3_j
                                        ; -- End function
	.section	.AMDGPU.csdata,"",@progbits
; Kernel info:
; codeLenInByte = 172
; NumSgprs: 11
; NumVgprs: 5
; NumAgprs: 0
; TotalNumVgprs: 5
; ScratchSize: 0
; MemoryBound: 0
; FloatMode: 240
; IeeeMode: 1
; LDSByteSize: 1024 bytes/workgroup (compile time only)
; SGPRBlocks: 1
; VGPRBlocks: 0
; NumSGPRsForWavesPerEU: 11
; NumVGPRsForWavesPerEU: 5
; AccumOffset: 8
; Occupancy: 8
; WaveLimiterHint : 0
; COMPUTE_PGM_RSRC2:SCRATCH_EN: 0
; COMPUTE_PGM_RSRC2:USER_SGPR: 6
; COMPUTE_PGM_RSRC2:TRAP_HANDLER: 0
; COMPUTE_PGM_RSRC2:TGID_X_EN: 1
; COMPUTE_PGM_RSRC2:TGID_Y_EN: 0
; COMPUTE_PGM_RSRC2:TGID_Z_EN: 0
; COMPUTE_PGM_RSRC2:TIDIG_COMP_CNT: 0
; COMPUTE_PGM_RSRC3_GFX90A:ACCUM_OFFSET: 1
; COMPUTE_PGM_RSRC3_GFX90A:TG_SPLIT: 0
	.section	.text._Z20warp_exchange_kernelILj256ELj4ELj64E18ScatterToStripedOpiEvPT3_j,"axG",@progbits,_Z20warp_exchange_kernelILj256ELj4ELj64E18ScatterToStripedOpiEvPT3_j,comdat
	.protected	_Z20warp_exchange_kernelILj256ELj4ELj64E18ScatterToStripedOpiEvPT3_j ; -- Begin function _Z20warp_exchange_kernelILj256ELj4ELj64E18ScatterToStripedOpiEvPT3_j
	.globl	_Z20warp_exchange_kernelILj256ELj4ELj64E18ScatterToStripedOpiEvPT3_j
	.p2align	8
	.type	_Z20warp_exchange_kernelILj256ELj4ELj64E18ScatterToStripedOpiEvPT3_j,@function
_Z20warp_exchange_kernelILj256ELj4ELj64E18ScatterToStripedOpiEvPT3_j: ; @_Z20warp_exchange_kernelILj256ELj4ELj64E18ScatterToStripedOpiEvPT3_j
; %bb.0:
	s_load_dword s0, s[4:5], 0x8
	v_lshlrev_b32_e32 v4, 2, v0
	v_or_b32_e32 v1, 1, v4
	v_or_b32_e32 v6, 2, v4
	;; [unrolled: 1-line block ×3, first 2 shown]
	s_waitcnt lgkmcnt(0)
	s_cmp_eq_u32 s0, 0
	s_cbranch_scc1 .LBB111_4
; %bb.1:
	v_and_b32_e32 v3, 0xfc, v4
	v_lshlrev_b32_e32 v0, 4, v0
	v_mbcnt_lo_u32_b32 v5, -1, 0
	v_xor_b32_e32 v2, 0xfc, v3
	v_and_b32_e32 v0, 0xc00, v0
	v_mbcnt_hi_u32_b32 v5, -1, v5
	v_lshl_or_b32 v2, v2, 2, v0
	v_lshl_or_b32 v3, v3, 2, v0
	;; [unrolled: 1-line block ×3, first 2 shown]
	v_mov_b32_e32 v0, v4
.LBB111_2:                              ; =>This Inner Loop Header: Depth=1
	s_waitcnt lgkmcnt(1)
	ds_write_b32 v2, v0
	ds_write_b32 v3, v1 offset:4
	s_waitcnt lgkmcnt(2)
	ds_write_b32 v2, v6 offset:8
	ds_write_b32 v3, v7 offset:12
	; wave barrier
	ds_read2st64_b32 v[0:1], v5 offset1:1
	ds_read2st64_b32 v[6:7], v5 offset0:2 offset1:3
	s_add_i32 s0, s0, -1
	s_cmp_lg_u32 s0, 0
	; wave barrier
	s_cbranch_scc1 .LBB111_2
; %bb.3:
	s_waitcnt lgkmcnt(0)
	v_mov_b32_e32 v2, v6
	v_mov_b32_e32 v3, v7
	s_branch .LBB111_5
.LBB111_4:
	v_mov_b32_e32 v5, v1
	v_pk_mov_b32 v[0:1], v[4:5], v[4:5] op_sel:[0,1]
	v_pk_mov_b32 v[2:3], v[6:7], v[6:7] op_sel:[0,1]
.LBB111_5:
	s_load_dwordx2 s[0:1], s[4:5], 0x0
	v_lshl_or_b32 v4, s6, 10, v4
	v_mov_b32_e32 v5, 0
	v_lshlrev_b64 v[4:5], 2, v[4:5]
	s_waitcnt lgkmcnt(0)
	v_mov_b32_e32 v6, s1
	v_add_co_u32_e32 v4, vcc, s0, v4
	v_addc_co_u32_e32 v5, vcc, v6, v5, vcc
	global_store_dwordx4 v[4:5], v[0:3], off
	s_endpgm
	.section	.rodata,"a",@progbits
	.p2align	6, 0x0
	.amdhsa_kernel _Z20warp_exchange_kernelILj256ELj4ELj64E18ScatterToStripedOpiEvPT3_j
		.amdhsa_group_segment_fixed_size 4096
		.amdhsa_private_segment_fixed_size 0
		.amdhsa_kernarg_size 12
		.amdhsa_user_sgpr_count 6
		.amdhsa_user_sgpr_private_segment_buffer 1
		.amdhsa_user_sgpr_dispatch_ptr 0
		.amdhsa_user_sgpr_queue_ptr 0
		.amdhsa_user_sgpr_kernarg_segment_ptr 1
		.amdhsa_user_sgpr_dispatch_id 0
		.amdhsa_user_sgpr_flat_scratch_init 0
		.amdhsa_user_sgpr_kernarg_preload_length 0
		.amdhsa_user_sgpr_kernarg_preload_offset 0
		.amdhsa_user_sgpr_private_segment_size 0
		.amdhsa_uses_dynamic_stack 0
		.amdhsa_system_sgpr_private_segment_wavefront_offset 0
		.amdhsa_system_sgpr_workgroup_id_x 1
		.amdhsa_system_sgpr_workgroup_id_y 0
		.amdhsa_system_sgpr_workgroup_id_z 0
		.amdhsa_system_sgpr_workgroup_info 0
		.amdhsa_system_vgpr_workitem_id 0
		.amdhsa_next_free_vgpr 8
		.amdhsa_next_free_sgpr 7
		.amdhsa_accum_offset 8
		.amdhsa_reserve_vcc 1
		.amdhsa_reserve_flat_scratch 0
		.amdhsa_float_round_mode_32 0
		.amdhsa_float_round_mode_16_64 0
		.amdhsa_float_denorm_mode_32 3
		.amdhsa_float_denorm_mode_16_64 3
		.amdhsa_dx10_clamp 1
		.amdhsa_ieee_mode 1
		.amdhsa_fp16_overflow 0
		.amdhsa_tg_split 0
		.amdhsa_exception_fp_ieee_invalid_op 0
		.amdhsa_exception_fp_denorm_src 0
		.amdhsa_exception_fp_ieee_div_zero 0
		.amdhsa_exception_fp_ieee_overflow 0
		.amdhsa_exception_fp_ieee_underflow 0
		.amdhsa_exception_fp_ieee_inexact 0
		.amdhsa_exception_int_div_zero 0
	.end_amdhsa_kernel
	.section	.text._Z20warp_exchange_kernelILj256ELj4ELj64E18ScatterToStripedOpiEvPT3_j,"axG",@progbits,_Z20warp_exchange_kernelILj256ELj4ELj64E18ScatterToStripedOpiEvPT3_j,comdat
.Lfunc_end111:
	.size	_Z20warp_exchange_kernelILj256ELj4ELj64E18ScatterToStripedOpiEvPT3_j, .Lfunc_end111-_Z20warp_exchange_kernelILj256ELj4ELj64E18ScatterToStripedOpiEvPT3_j
                                        ; -- End function
	.section	.AMDGPU.csdata,"",@progbits
; Kernel info:
; codeLenInByte = 268
; NumSgprs: 11
; NumVgprs: 8
; NumAgprs: 0
; TotalNumVgprs: 8
; ScratchSize: 0
; MemoryBound: 0
; FloatMode: 240
; IeeeMode: 1
; LDSByteSize: 4096 bytes/workgroup (compile time only)
; SGPRBlocks: 1
; VGPRBlocks: 0
; NumSGPRsForWavesPerEU: 11
; NumVGPRsForWavesPerEU: 8
; AccumOffset: 8
; Occupancy: 8
; WaveLimiterHint : 0
; COMPUTE_PGM_RSRC2:SCRATCH_EN: 0
; COMPUTE_PGM_RSRC2:USER_SGPR: 6
; COMPUTE_PGM_RSRC2:TRAP_HANDLER: 0
; COMPUTE_PGM_RSRC2:TGID_X_EN: 1
; COMPUTE_PGM_RSRC2:TGID_Y_EN: 0
; COMPUTE_PGM_RSRC2:TGID_Z_EN: 0
; COMPUTE_PGM_RSRC2:TIDIG_COMP_CNT: 0
; COMPUTE_PGM_RSRC3_GFX90A:ACCUM_OFFSET: 1
; COMPUTE_PGM_RSRC3_GFX90A:TG_SPLIT: 0
	.section	.text._Z20warp_exchange_kernelILj256ELj16ELj64E18ScatterToStripedOpiEvPT3_j,"axG",@progbits,_Z20warp_exchange_kernelILj256ELj16ELj64E18ScatterToStripedOpiEvPT3_j,comdat
	.protected	_Z20warp_exchange_kernelILj256ELj16ELj64E18ScatterToStripedOpiEvPT3_j ; -- Begin function _Z20warp_exchange_kernelILj256ELj16ELj64E18ScatterToStripedOpiEvPT3_j
	.globl	_Z20warp_exchange_kernelILj256ELj16ELj64E18ScatterToStripedOpiEvPT3_j
	.p2align	8
	.type	_Z20warp_exchange_kernelILj256ELj16ELj64E18ScatterToStripedOpiEvPT3_j,@function
_Z20warp_exchange_kernelILj256ELj16ELj64E18ScatterToStripedOpiEvPT3_j: ; @_Z20warp_exchange_kernelILj256ELj16ELj64E18ScatterToStripedOpiEvPT3_j
; %bb.0:
	s_load_dword s0, s[4:5], 0x8
	v_lshlrev_b32_e32 v16, 4, v0
	v_or_b32_e32 v17, 1, v16
	v_or_b32_e32 v18, 2, v16
	;; [unrolled: 1-line block ×14, first 2 shown]
	s_waitcnt lgkmcnt(0)
	s_cmp_lg_u32 s0, 0
	v_or_b32_e32 v31, 15, v16
	s_cbranch_scc0 .LBB112_6
; %bb.1:
	v_and_b32_e32 v1, 0x3f0, v16
	v_lshlrev_b32_e32 v0, 6, v0
	v_mbcnt_lo_u32_b32 v3, -1, 0
	v_xor_b32_e32 v2, 0x3f0, v1
	v_and_b32_e32 v0, 0x3000, v0
	v_mbcnt_hi_u32_b32 v3, -1, v3
	v_lshl_or_b32 v32, v3, 2, v0
	v_lshl_or_b32 v33, v2, 2, v0
	;; [unrolled: 1-line block ×3, first 2 shown]
	v_mov_b32_e32 v8, v16
	v_mov_b32_e32 v9, v17
	;; [unrolled: 1-line block ×16, first 2 shown]
.LBB112_2:                              ; =>This Inner Loop Header: Depth=1
	s_waitcnt lgkmcnt(7)
	ds_write_b32 v33, v8
	ds_write_b32 v34, v9 offset:4
	s_waitcnt lgkmcnt(8)
	ds_write_b32 v33, v10 offset:8
	ds_write_b32 v34, v11 offset:12
	s_waitcnt lgkmcnt(9)
	ds_write_b32 v33, v12 offset:16
	;; [unrolled: 3-line block ×7, first 2 shown]
	ds_write_b32 v34, v3 offset:60
	; wave barrier
	ds_read2st64_b32 v[8:9], v32 offset1:1
	ds_read2st64_b32 v[10:11], v32 offset0:2 offset1:3
	ds_read2st64_b32 v[12:13], v32 offset0:4 offset1:5
	;; [unrolled: 1-line block ×7, first 2 shown]
	s_add_i32 s0, s0, -1
	s_cmp_lg_u32 s0, 0
	; wave barrier
	s_cbranch_scc1 .LBB112_2
; %bb.3:
	s_branch .LBB112_5
.LBB112_4:
	s_waitcnt lgkmcnt(6)
	v_pk_mov_b32 v[10:11], v[18:19], v[18:19] op_sel:[0,1]
	s_waitcnt lgkmcnt(5)
	v_pk_mov_b32 v[12:13], v[20:21], v[20:21] op_sel:[0,1]
	;; [unrolled: 2-line block ×7, first 2 shown]
	v_pk_mov_b32 v[8:9], v[16:17], v[16:17] op_sel:[0,1]
.LBB112_5:
	s_load_dwordx2 s[0:1], s[4:5], 0x0
	v_lshl_or_b32 v16, s6, 12, v16
	v_mov_b32_e32 v17, 0
	v_lshlrev_b64 v[16:17], 2, v[16:17]
	s_waitcnt lgkmcnt(0)
	v_mov_b32_e32 v18, s1
	v_add_co_u32_e32 v16, vcc, s0, v16
	v_addc_co_u32_e32 v17, vcc, v18, v17, vcc
	global_store_dwordx4 v[16:17], v[8:11], off
	global_store_dwordx4 v[16:17], v[12:15], off offset:16
	global_store_dwordx4 v[16:17], v[4:7], off offset:32
	;; [unrolled: 1-line block ×3, first 2 shown]
	s_endpgm
.LBB112_6:
                                        ; implicit-def: $vgpr8_vgpr9
                                        ; implicit-def: $vgpr2_vgpr3
                                        ; implicit-def: $vgpr6_vgpr7
                                        ; implicit-def: $vgpr14_vgpr15
	s_cbranch_execnz .LBB112_4
	s_branch .LBB112_5
	.section	.rodata,"a",@progbits
	.p2align	6, 0x0
	.amdhsa_kernel _Z20warp_exchange_kernelILj256ELj16ELj64E18ScatterToStripedOpiEvPT3_j
		.amdhsa_group_segment_fixed_size 16384
		.amdhsa_private_segment_fixed_size 0
		.amdhsa_kernarg_size 12
		.amdhsa_user_sgpr_count 6
		.amdhsa_user_sgpr_private_segment_buffer 1
		.amdhsa_user_sgpr_dispatch_ptr 0
		.amdhsa_user_sgpr_queue_ptr 0
		.amdhsa_user_sgpr_kernarg_segment_ptr 1
		.amdhsa_user_sgpr_dispatch_id 0
		.amdhsa_user_sgpr_flat_scratch_init 0
		.amdhsa_user_sgpr_kernarg_preload_length 0
		.amdhsa_user_sgpr_kernarg_preload_offset 0
		.amdhsa_user_sgpr_private_segment_size 0
		.amdhsa_uses_dynamic_stack 0
		.amdhsa_system_sgpr_private_segment_wavefront_offset 0
		.amdhsa_system_sgpr_workgroup_id_x 1
		.amdhsa_system_sgpr_workgroup_id_y 0
		.amdhsa_system_sgpr_workgroup_id_z 0
		.amdhsa_system_sgpr_workgroup_info 0
		.amdhsa_system_vgpr_workitem_id 0
		.amdhsa_next_free_vgpr 35
		.amdhsa_next_free_sgpr 7
		.amdhsa_accum_offset 36
		.amdhsa_reserve_vcc 1
		.amdhsa_reserve_flat_scratch 0
		.amdhsa_float_round_mode_32 0
		.amdhsa_float_round_mode_16_64 0
		.amdhsa_float_denorm_mode_32 3
		.amdhsa_float_denorm_mode_16_64 3
		.amdhsa_dx10_clamp 1
		.amdhsa_ieee_mode 1
		.amdhsa_fp16_overflow 0
		.amdhsa_tg_split 0
		.amdhsa_exception_fp_ieee_invalid_op 0
		.amdhsa_exception_fp_denorm_src 0
		.amdhsa_exception_fp_ieee_div_zero 0
		.amdhsa_exception_fp_ieee_overflow 0
		.amdhsa_exception_fp_ieee_underflow 0
		.amdhsa_exception_fp_ieee_inexact 0
		.amdhsa_exception_int_div_zero 0
	.end_amdhsa_kernel
	.section	.text._Z20warp_exchange_kernelILj256ELj16ELj64E18ScatterToStripedOpiEvPT3_j,"axG",@progbits,_Z20warp_exchange_kernelILj256ELj16ELj64E18ScatterToStripedOpiEvPT3_j,comdat
.Lfunc_end112:
	.size	_Z20warp_exchange_kernelILj256ELj16ELj64E18ScatterToStripedOpiEvPT3_j, .Lfunc_end112-_Z20warp_exchange_kernelILj256ELj16ELj64E18ScatterToStripedOpiEvPT3_j
                                        ; -- End function
	.section	.AMDGPU.csdata,"",@progbits
; Kernel info:
; codeLenInByte = 636
; NumSgprs: 11
; NumVgprs: 35
; NumAgprs: 0
; TotalNumVgprs: 35
; ScratchSize: 0
; MemoryBound: 0
; FloatMode: 240
; IeeeMode: 1
; LDSByteSize: 16384 bytes/workgroup (compile time only)
; SGPRBlocks: 1
; VGPRBlocks: 4
; NumSGPRsForWavesPerEU: 11
; NumVGPRsForWavesPerEU: 35
; AccumOffset: 36
; Occupancy: 4
; WaveLimiterHint : 0
; COMPUTE_PGM_RSRC2:SCRATCH_EN: 0
; COMPUTE_PGM_RSRC2:USER_SGPR: 6
; COMPUTE_PGM_RSRC2:TRAP_HANDLER: 0
; COMPUTE_PGM_RSRC2:TGID_X_EN: 1
; COMPUTE_PGM_RSRC2:TGID_Y_EN: 0
; COMPUTE_PGM_RSRC2:TGID_Z_EN: 0
; COMPUTE_PGM_RSRC2:TIDIG_COMP_CNT: 0
; COMPUTE_PGM_RSRC3_GFX90A:ACCUM_OFFSET: 8
; COMPUTE_PGM_RSRC3_GFX90A:TG_SPLIT: 0
	.section	.text._Z20warp_exchange_kernelILj256ELj1ELj64EN6common18BlockedToStripedOpEnEvPT3_j,"axG",@progbits,_Z20warp_exchange_kernelILj256ELj1ELj64EN6common18BlockedToStripedOpEnEvPT3_j,comdat
	.protected	_Z20warp_exchange_kernelILj256ELj1ELj64EN6common18BlockedToStripedOpEnEvPT3_j ; -- Begin function _Z20warp_exchange_kernelILj256ELj1ELj64EN6common18BlockedToStripedOpEnEvPT3_j
	.globl	_Z20warp_exchange_kernelILj256ELj1ELj64EN6common18BlockedToStripedOpEnEvPT3_j
	.p2align	8
	.type	_Z20warp_exchange_kernelILj256ELj1ELj64EN6common18BlockedToStripedOpEnEvPT3_j,@function
_Z20warp_exchange_kernelILj256ELj1ELj64EN6common18BlockedToStripedOpEnEvPT3_j: ; @_Z20warp_exchange_kernelILj256ELj1ELj64EN6common18BlockedToStripedOpEnEvPT3_j
; %bb.0:
	s_load_dword s0, s[4:5], 0x8
	v_mov_b32_e32 v1, 0
	v_pk_mov_b32 v[4:5], 0, 0
	s_waitcnt lgkmcnt(0)
	s_cmp_eq_u32 s0, 0
	s_cbranch_scc1 .LBB113_3
; %bb.1:
	v_lshlrev_b32_e32 v2, 4, v0
	v_mbcnt_lo_u32_b32 v3, -1, 0
	v_and_b32_e32 v2, 0xc00, v2
	v_mbcnt_hi_u32_b32 v3, -1, v3
	v_lshl_add_u32 v6, v3, 4, v2
	v_pk_mov_b32 v[2:3], v[0:1], v[0:1] op_sel:[0,1]
.LBB113_2:                              ; =>This Inner Loop Header: Depth=1
	s_waitcnt lgkmcnt(0)
	ds_write_b128 v6, v[2:5]
	; wave barrier
	ds_read_b128 v[2:5], v6
	s_add_i32 s0, s0, -1
	s_cmp_lg_u32 s0, 0
	; wave barrier
	s_cbranch_scc1 .LBB113_2
	s_branch .LBB113_4
.LBB113_3:
	v_pk_mov_b32 v[2:3], v[0:1], v[0:1] op_sel:[0,1]
.LBB113_4:
	s_load_dwordx2 s[0:1], s[4:5], 0x0
	v_lshl_or_b32 v0, s6, 8, v0
	v_mov_b32_e32 v1, 0
	v_lshlrev_b64 v[0:1], 4, v[0:1]
	s_waitcnt lgkmcnt(0)
	v_mov_b32_e32 v6, s1
	v_add_co_u32_e32 v0, vcc, s0, v0
	v_addc_co_u32_e32 v1, vcc, v6, v1, vcc
	global_store_dwordx4 v[0:1], v[2:5], off
	s_endpgm
	.section	.rodata,"a",@progbits
	.p2align	6, 0x0
	.amdhsa_kernel _Z20warp_exchange_kernelILj256ELj1ELj64EN6common18BlockedToStripedOpEnEvPT3_j
		.amdhsa_group_segment_fixed_size 4096
		.amdhsa_private_segment_fixed_size 0
		.amdhsa_kernarg_size 12
		.amdhsa_user_sgpr_count 6
		.amdhsa_user_sgpr_private_segment_buffer 1
		.amdhsa_user_sgpr_dispatch_ptr 0
		.amdhsa_user_sgpr_queue_ptr 0
		.amdhsa_user_sgpr_kernarg_segment_ptr 1
		.amdhsa_user_sgpr_dispatch_id 0
		.amdhsa_user_sgpr_flat_scratch_init 0
		.amdhsa_user_sgpr_kernarg_preload_length 0
		.amdhsa_user_sgpr_kernarg_preload_offset 0
		.amdhsa_user_sgpr_private_segment_size 0
		.amdhsa_uses_dynamic_stack 0
		.amdhsa_system_sgpr_private_segment_wavefront_offset 0
		.amdhsa_system_sgpr_workgroup_id_x 1
		.amdhsa_system_sgpr_workgroup_id_y 0
		.amdhsa_system_sgpr_workgroup_id_z 0
		.amdhsa_system_sgpr_workgroup_info 0
		.amdhsa_system_vgpr_workitem_id 0
		.amdhsa_next_free_vgpr 7
		.amdhsa_next_free_sgpr 7
		.amdhsa_accum_offset 8
		.amdhsa_reserve_vcc 1
		.amdhsa_reserve_flat_scratch 0
		.amdhsa_float_round_mode_32 0
		.amdhsa_float_round_mode_16_64 0
		.amdhsa_float_denorm_mode_32 3
		.amdhsa_float_denorm_mode_16_64 3
		.amdhsa_dx10_clamp 1
		.amdhsa_ieee_mode 1
		.amdhsa_fp16_overflow 0
		.amdhsa_tg_split 0
		.amdhsa_exception_fp_ieee_invalid_op 0
		.amdhsa_exception_fp_denorm_src 0
		.amdhsa_exception_fp_ieee_div_zero 0
		.amdhsa_exception_fp_ieee_overflow 0
		.amdhsa_exception_fp_ieee_underflow 0
		.amdhsa_exception_fp_ieee_inexact 0
		.amdhsa_exception_int_div_zero 0
	.end_amdhsa_kernel
	.section	.text._Z20warp_exchange_kernelILj256ELj1ELj64EN6common18BlockedToStripedOpEnEvPT3_j,"axG",@progbits,_Z20warp_exchange_kernelILj256ELj1ELj64EN6common18BlockedToStripedOpEnEvPT3_j,comdat
.Lfunc_end113:
	.size	_Z20warp_exchange_kernelILj256ELj1ELj64EN6common18BlockedToStripedOpEnEvPT3_j, .Lfunc_end113-_Z20warp_exchange_kernelILj256ELj1ELj64EN6common18BlockedToStripedOpEnEvPT3_j
                                        ; -- End function
	.section	.AMDGPU.csdata,"",@progbits
; Kernel info:
; codeLenInByte = 176
; NumSgprs: 11
; NumVgprs: 7
; NumAgprs: 0
; TotalNumVgprs: 7
; ScratchSize: 0
; MemoryBound: 0
; FloatMode: 240
; IeeeMode: 1
; LDSByteSize: 4096 bytes/workgroup (compile time only)
; SGPRBlocks: 1
; VGPRBlocks: 0
; NumSGPRsForWavesPerEU: 11
; NumVGPRsForWavesPerEU: 7
; AccumOffset: 8
; Occupancy: 8
; WaveLimiterHint : 0
; COMPUTE_PGM_RSRC2:SCRATCH_EN: 0
; COMPUTE_PGM_RSRC2:USER_SGPR: 6
; COMPUTE_PGM_RSRC2:TRAP_HANDLER: 0
; COMPUTE_PGM_RSRC2:TGID_X_EN: 1
; COMPUTE_PGM_RSRC2:TGID_Y_EN: 0
; COMPUTE_PGM_RSRC2:TGID_Z_EN: 0
; COMPUTE_PGM_RSRC2:TIDIG_COMP_CNT: 0
; COMPUTE_PGM_RSRC3_GFX90A:ACCUM_OFFSET: 1
; COMPUTE_PGM_RSRC3_GFX90A:TG_SPLIT: 0
	.section	.text._Z20warp_exchange_kernelILj256ELj4ELj64EN6common18BlockedToStripedOpEnEvPT3_j,"axG",@progbits,_Z20warp_exchange_kernelILj256ELj4ELj64EN6common18BlockedToStripedOpEnEvPT3_j,comdat
	.protected	_Z20warp_exchange_kernelILj256ELj4ELj64EN6common18BlockedToStripedOpEnEvPT3_j ; -- Begin function _Z20warp_exchange_kernelILj256ELj4ELj64EN6common18BlockedToStripedOpEnEvPT3_j
	.globl	_Z20warp_exchange_kernelILj256ELj4ELj64EN6common18BlockedToStripedOpEnEvPT3_j
	.p2align	8
	.type	_Z20warp_exchange_kernelILj256ELj4ELj64EN6common18BlockedToStripedOpEnEvPT3_j,@function
_Z20warp_exchange_kernelILj256ELj4ELj64EN6common18BlockedToStripedOpEnEvPT3_j: ; @_Z20warp_exchange_kernelILj256ELj4ELj64EN6common18BlockedToStripedOpEnEvPT3_j
; %bb.0:
	s_load_dword s0, s[4:5], 0x8
	v_lshlrev_b32_e32 v18, 2, v0
	v_or_b32_e32 v10, 1, v18
	v_or_b32_e32 v6, 2, v18
	;; [unrolled: 1-line block ×3, first 2 shown]
	s_waitcnt lgkmcnt(0)
	s_cmp_eq_u32 s0, 0
	s_cbranch_scc1 .LBB114_3
; %bb.1:
	v_lshlrev_b32_e32 v0, 6, v0
	v_mov_b32_e32 v3, 0
	v_and_b32_e32 v1, 0x3000, v0
	v_mbcnt_lo_u32_b32 v0, -1, 0
	v_pk_mov_b32 v[4:5], 0, 0
	v_mov_b32_e32 v19, v3
	v_mbcnt_hi_u32_b32 v8, -1, v0
	v_pk_mov_b32 v[16:17], 0, 0
	v_mov_b32_e32 v7, v3
	v_mov_b32_e32 v11, v3
	v_lshl_add_u32 v0, v8, 6, v1
	v_lshl_or_b32 v1, v8, 4, v1
	v_pk_mov_b32 v[8:9], v[4:5], v[4:5] op_sel:[0,1]
	v_pk_mov_b32 v[12:13], v[4:5], v[4:5] op_sel:[0,1]
	;; [unrolled: 1-line block ×3, first 2 shown]
.LBB114_2:                              ; =>This Inner Loop Header: Depth=1
	s_waitcnt lgkmcnt(3)
	ds_write_b128 v0, v[14:17]
	s_waitcnt lgkmcnt(3)
	ds_write_b128 v0, v[10:13] offset:16
	s_waitcnt lgkmcnt(3)
	ds_write_b128 v0, v[6:9] offset:32
	;; [unrolled: 2-line block ×3, first 2 shown]
	; wave barrier
	ds_read_b128 v[14:17], v1
	ds_read_b128 v[10:13], v1 offset:1024
	ds_read_b128 v[6:9], v1 offset:2048
	;; [unrolled: 1-line block ×3, first 2 shown]
	s_add_i32 s0, s0, -1
	s_cmp_lg_u32 s0, 0
	; wave barrier
	s_cbranch_scc1 .LBB114_2
	s_branch .LBB114_4
.LBB114_3:
	v_mov_b32_e32 v19, 0
	v_pk_mov_b32 v[16:17], 0, 0
	v_pk_mov_b32 v[4:5], 0, 0
	v_mov_b32_e32 v11, v19
	v_mov_b32_e32 v7, v19
	;; [unrolled: 1-line block ×3, first 2 shown]
	v_pk_mov_b32 v[14:15], v[18:19], v[18:19] op_sel:[0,1]
	v_pk_mov_b32 v[12:13], v[16:17], v[16:17] op_sel:[0,1]
	;; [unrolled: 1-line block ×3, first 2 shown]
.LBB114_4:
	s_load_dwordx2 s[0:1], s[4:5], 0x0
	v_lshl_or_b32 v0, s6, 10, v18
	v_mov_b32_e32 v1, 0
	v_lshlrev_b64 v[0:1], 4, v[0:1]
	s_waitcnt lgkmcnt(0)
	v_mov_b32_e32 v18, s1
	v_add_co_u32_e32 v0, vcc, s0, v0
	v_addc_co_u32_e32 v1, vcc, v18, v1, vcc
	global_store_dwordx4 v[0:1], v[14:17], off
	global_store_dwordx4 v[0:1], v[10:13], off offset:16
	global_store_dwordx4 v[0:1], v[6:9], off offset:32
	;; [unrolled: 1-line block ×3, first 2 shown]
	s_endpgm
	.section	.rodata,"a",@progbits
	.p2align	6, 0x0
	.amdhsa_kernel _Z20warp_exchange_kernelILj256ELj4ELj64EN6common18BlockedToStripedOpEnEvPT3_j
		.amdhsa_group_segment_fixed_size 16384
		.amdhsa_private_segment_fixed_size 0
		.amdhsa_kernarg_size 12
		.amdhsa_user_sgpr_count 6
		.amdhsa_user_sgpr_private_segment_buffer 1
		.amdhsa_user_sgpr_dispatch_ptr 0
		.amdhsa_user_sgpr_queue_ptr 0
		.amdhsa_user_sgpr_kernarg_segment_ptr 1
		.amdhsa_user_sgpr_dispatch_id 0
		.amdhsa_user_sgpr_flat_scratch_init 0
		.amdhsa_user_sgpr_kernarg_preload_length 0
		.amdhsa_user_sgpr_kernarg_preload_offset 0
		.amdhsa_user_sgpr_private_segment_size 0
		.amdhsa_uses_dynamic_stack 0
		.amdhsa_system_sgpr_private_segment_wavefront_offset 0
		.amdhsa_system_sgpr_workgroup_id_x 1
		.amdhsa_system_sgpr_workgroup_id_y 0
		.amdhsa_system_sgpr_workgroup_id_z 0
		.amdhsa_system_sgpr_workgroup_info 0
		.amdhsa_system_vgpr_workitem_id 0
		.amdhsa_next_free_vgpr 20
		.amdhsa_next_free_sgpr 7
		.amdhsa_accum_offset 20
		.amdhsa_reserve_vcc 1
		.amdhsa_reserve_flat_scratch 0
		.amdhsa_float_round_mode_32 0
		.amdhsa_float_round_mode_16_64 0
		.amdhsa_float_denorm_mode_32 3
		.amdhsa_float_denorm_mode_16_64 3
		.amdhsa_dx10_clamp 1
		.amdhsa_ieee_mode 1
		.amdhsa_fp16_overflow 0
		.amdhsa_tg_split 0
		.amdhsa_exception_fp_ieee_invalid_op 0
		.amdhsa_exception_fp_denorm_src 0
		.amdhsa_exception_fp_ieee_div_zero 0
		.amdhsa_exception_fp_ieee_overflow 0
		.amdhsa_exception_fp_ieee_underflow 0
		.amdhsa_exception_fp_ieee_inexact 0
		.amdhsa_exception_int_div_zero 0
	.end_amdhsa_kernel
	.section	.text._Z20warp_exchange_kernelILj256ELj4ELj64EN6common18BlockedToStripedOpEnEvPT3_j,"axG",@progbits,_Z20warp_exchange_kernelILj256ELj4ELj64EN6common18BlockedToStripedOpEnEvPT3_j,comdat
.Lfunc_end114:
	.size	_Z20warp_exchange_kernelILj256ELj4ELj64EN6common18BlockedToStripedOpEnEvPT3_j, .Lfunc_end114-_Z20warp_exchange_kernelILj256ELj4ELj64EN6common18BlockedToStripedOpEnEvPT3_j
                                        ; -- End function
	.section	.AMDGPU.csdata,"",@progbits
; Kernel info:
; codeLenInByte = 368
; NumSgprs: 11
; NumVgprs: 20
; NumAgprs: 0
; TotalNumVgprs: 20
; ScratchSize: 0
; MemoryBound: 0
; FloatMode: 240
; IeeeMode: 1
; LDSByteSize: 16384 bytes/workgroup (compile time only)
; SGPRBlocks: 1
; VGPRBlocks: 2
; NumSGPRsForWavesPerEU: 11
; NumVGPRsForWavesPerEU: 20
; AccumOffset: 20
; Occupancy: 4
; WaveLimiterHint : 0
; COMPUTE_PGM_RSRC2:SCRATCH_EN: 0
; COMPUTE_PGM_RSRC2:USER_SGPR: 6
; COMPUTE_PGM_RSRC2:TRAP_HANDLER: 0
; COMPUTE_PGM_RSRC2:TGID_X_EN: 1
; COMPUTE_PGM_RSRC2:TGID_Y_EN: 0
; COMPUTE_PGM_RSRC2:TGID_Z_EN: 0
; COMPUTE_PGM_RSRC2:TIDIG_COMP_CNT: 0
; COMPUTE_PGM_RSRC3_GFX90A:ACCUM_OFFSET: 4
; COMPUTE_PGM_RSRC3_GFX90A:TG_SPLIT: 0
	.section	.text._Z20warp_exchange_kernelILj256ELj16ELj64EN6common18BlockedToStripedOpEnEvPT3_j,"axG",@progbits,_Z20warp_exchange_kernelILj256ELj16ELj64EN6common18BlockedToStripedOpEnEvPT3_j,comdat
	.protected	_Z20warp_exchange_kernelILj256ELj16ELj64EN6common18BlockedToStripedOpEnEvPT3_j ; -- Begin function _Z20warp_exchange_kernelILj256ELj16ELj64EN6common18BlockedToStripedOpEnEvPT3_j
	.globl	_Z20warp_exchange_kernelILj256ELj16ELj64EN6common18BlockedToStripedOpEnEvPT3_j
	.p2align	8
	.type	_Z20warp_exchange_kernelILj256ELj16ELj64EN6common18BlockedToStripedOpEnEvPT3_j,@function
_Z20warp_exchange_kernelILj256ELj16ELj64EN6common18BlockedToStripedOpEnEvPT3_j: ; @_Z20warp_exchange_kernelILj256ELj16ELj64EN6common18BlockedToStripedOpEnEvPT3_j
; %bb.0:
	s_load_dword s0, s[4:5], 0x8
	v_lshlrev_b32_e32 v66, 4, v0
	v_or_b32_e32 v58, 1, v66
	v_or_b32_e32 v54, 2, v66
	;; [unrolled: 1-line block ×14, first 2 shown]
	s_waitcnt lgkmcnt(0)
	s_cmp_eq_u32 s0, 0
	v_or_b32_e32 v2, 15, v66
	s_cbranch_scc1 .LBB115_3
; %bb.1:
	v_lshlrev_b32_e32 v0, 8, v0
	v_mov_b32_e32 v3, 0
	v_and_b32_e32 v1, 0xc000, v0
	v_mbcnt_lo_u32_b32 v0, -1, 0
	v_pk_mov_b32 v[4:5], 0, 0
	v_mov_b32_e32 v67, v3
	v_mbcnt_hi_u32_b32 v8, -1, v0
	v_pk_mov_b32 v[64:65], 0, 0
	v_mov_b32_e32 v7, v3
	v_mov_b32_e32 v11, v3
	;; [unrolled: 1-line block ×14, first 2 shown]
	v_lshl_add_u32 v0, v8, 8, v1
	v_lshl_or_b32 v1, v8, 4, v1
	v_pk_mov_b32 v[8:9], v[4:5], v[4:5] op_sel:[0,1]
	v_pk_mov_b32 v[12:13], v[4:5], v[4:5] op_sel:[0,1]
	;; [unrolled: 1-line block ×15, first 2 shown]
.LBB115_2:                              ; =>This Inner Loop Header: Depth=1
	s_waitcnt lgkmcnt(14)
	ds_write_b128 v0, v[62:65]
	ds_write_b128 v0, v[58:61] offset:16
	s_waitcnt lgkmcnt(14)
	ds_write_b128 v0, v[54:57] offset:32
	ds_write_b128 v0, v[50:53] offset:48
	s_waitcnt lgkmcnt(14)
	ds_write_b128 v0, v[46:49] offset:64
	ds_write_b128 v0, v[42:45] offset:80
	s_waitcnt lgkmcnt(14)
	ds_write_b128 v0, v[38:41] offset:96
	ds_write_b128 v0, v[34:37] offset:112
	s_waitcnt lgkmcnt(14)
	ds_write_b128 v0, v[30:33] offset:128
	ds_write_b128 v0, v[26:29] offset:144
	s_waitcnt lgkmcnt(14)
	ds_write_b128 v0, v[22:25] offset:160
	ds_write_b128 v0, v[18:21] offset:176
	s_waitcnt lgkmcnt(14)
	ds_write_b128 v0, v[14:17] offset:192
	ds_write_b128 v0, v[10:13] offset:208
	s_waitcnt lgkmcnt(14)
	ds_write_b128 v0, v[6:9] offset:224
	ds_write_b128 v0, v[2:5] offset:240
	; wave barrier
	ds_read_b128 v[62:65], v1
	ds_read_b128 v[58:61], v1 offset:1024
	ds_read_b128 v[54:57], v1 offset:2048
	;; [unrolled: 1-line block ×15, first 2 shown]
	s_add_i32 s0, s0, -1
	s_cmp_lg_u32 s0, 0
	; wave barrier
	s_cbranch_scc1 .LBB115_2
	s_branch .LBB115_4
.LBB115_3:
	v_mov_b32_e32 v67, 0
	v_pk_mov_b32 v[64:65], 0, 0
	v_pk_mov_b32 v[4:5], 0, 0
	v_mov_b32_e32 v59, v67
	v_mov_b32_e32 v55, v67
	;; [unrolled: 1-line block ×15, first 2 shown]
	v_pk_mov_b32 v[62:63], v[66:67], v[66:67] op_sel:[0,1]
	v_pk_mov_b32 v[60:61], v[64:65], v[64:65] op_sel:[0,1]
	;; [unrolled: 1-line block ×15, first 2 shown]
.LBB115_4:
	s_load_dwordx2 s[0:1], s[4:5], 0x0
	v_lshl_or_b32 v0, s6, 12, v66
	v_mov_b32_e32 v1, 0
	v_lshlrev_b64 v[0:1], 4, v[0:1]
	s_waitcnt lgkmcnt(0)
	v_mov_b32_e32 v66, s1
	v_add_co_u32_e32 v0, vcc, s0, v0
	v_addc_co_u32_e32 v1, vcc, v66, v1, vcc
	global_store_dwordx4 v[0:1], v[62:65], off
	global_store_dwordx4 v[0:1], v[58:61], off offset:16
	global_store_dwordx4 v[0:1], v[54:57], off offset:32
	;; [unrolled: 1-line block ×15, first 2 shown]
	s_endpgm
	.section	.rodata,"a",@progbits
	.p2align	6, 0x0
	.amdhsa_kernel _Z20warp_exchange_kernelILj256ELj16ELj64EN6common18BlockedToStripedOpEnEvPT3_j
		.amdhsa_group_segment_fixed_size 65536
		.amdhsa_private_segment_fixed_size 0
		.amdhsa_kernarg_size 12
		.amdhsa_user_sgpr_count 6
		.amdhsa_user_sgpr_private_segment_buffer 1
		.amdhsa_user_sgpr_dispatch_ptr 0
		.amdhsa_user_sgpr_queue_ptr 0
		.amdhsa_user_sgpr_kernarg_segment_ptr 1
		.amdhsa_user_sgpr_dispatch_id 0
		.amdhsa_user_sgpr_flat_scratch_init 0
		.amdhsa_user_sgpr_kernarg_preload_length 0
		.amdhsa_user_sgpr_kernarg_preload_offset 0
		.amdhsa_user_sgpr_private_segment_size 0
		.amdhsa_uses_dynamic_stack 0
		.amdhsa_system_sgpr_private_segment_wavefront_offset 0
		.amdhsa_system_sgpr_workgroup_id_x 1
		.amdhsa_system_sgpr_workgroup_id_y 0
		.amdhsa_system_sgpr_workgroup_id_z 0
		.amdhsa_system_sgpr_workgroup_info 0
		.amdhsa_system_vgpr_workitem_id 0
		.amdhsa_next_free_vgpr 68
		.amdhsa_next_free_sgpr 7
		.amdhsa_accum_offset 68
		.amdhsa_reserve_vcc 1
		.amdhsa_reserve_flat_scratch 0
		.amdhsa_float_round_mode_32 0
		.amdhsa_float_round_mode_16_64 0
		.amdhsa_float_denorm_mode_32 3
		.amdhsa_float_denorm_mode_16_64 3
		.amdhsa_dx10_clamp 1
		.amdhsa_ieee_mode 1
		.amdhsa_fp16_overflow 0
		.amdhsa_tg_split 0
		.amdhsa_exception_fp_ieee_invalid_op 0
		.amdhsa_exception_fp_denorm_src 0
		.amdhsa_exception_fp_ieee_div_zero 0
		.amdhsa_exception_fp_ieee_overflow 0
		.amdhsa_exception_fp_ieee_underflow 0
		.amdhsa_exception_fp_ieee_inexact 0
		.amdhsa_exception_int_div_zero 0
	.end_amdhsa_kernel
	.section	.text._Z20warp_exchange_kernelILj256ELj16ELj64EN6common18BlockedToStripedOpEnEvPT3_j,"axG",@progbits,_Z20warp_exchange_kernelILj256ELj16ELj64EN6common18BlockedToStripedOpEnEvPT3_j,comdat
.Lfunc_end115:
	.size	_Z20warp_exchange_kernelILj256ELj16ELj64EN6common18BlockedToStripedOpEnEvPT3_j, .Lfunc_end115-_Z20warp_exchange_kernelILj256ELj16ELj64EN6common18BlockedToStripedOpEnEvPT3_j
                                        ; -- End function
	.section	.AMDGPU.csdata,"",@progbits
; Kernel info:
; codeLenInByte = 1008
; NumSgprs: 11
; NumVgprs: 68
; NumAgprs: 0
; TotalNumVgprs: 68
; ScratchSize: 0
; MemoryBound: 1
; FloatMode: 240
; IeeeMode: 1
; LDSByteSize: 65536 bytes/workgroup (compile time only)
; SGPRBlocks: 1
; VGPRBlocks: 8
; NumSGPRsForWavesPerEU: 11
; NumVGPRsForWavesPerEU: 68
; AccumOffset: 68
; Occupancy: 1
; WaveLimiterHint : 1
; COMPUTE_PGM_RSRC2:SCRATCH_EN: 0
; COMPUTE_PGM_RSRC2:USER_SGPR: 6
; COMPUTE_PGM_RSRC2:TRAP_HANDLER: 0
; COMPUTE_PGM_RSRC2:TGID_X_EN: 1
; COMPUTE_PGM_RSRC2:TGID_Y_EN: 0
; COMPUTE_PGM_RSRC2:TGID_Z_EN: 0
; COMPUTE_PGM_RSRC2:TIDIG_COMP_CNT: 0
; COMPUTE_PGM_RSRC3_GFX90A:ACCUM_OFFSET: 16
; COMPUTE_PGM_RSRC3_GFX90A:TG_SPLIT: 0
	.section	.text._Z20warp_exchange_kernelILj256ELj1ELj64EN6common18StripedToBlockedOpEnEvPT3_j,"axG",@progbits,_Z20warp_exchange_kernelILj256ELj1ELj64EN6common18StripedToBlockedOpEnEvPT3_j,comdat
	.protected	_Z20warp_exchange_kernelILj256ELj1ELj64EN6common18StripedToBlockedOpEnEvPT3_j ; -- Begin function _Z20warp_exchange_kernelILj256ELj1ELj64EN6common18StripedToBlockedOpEnEvPT3_j
	.globl	_Z20warp_exchange_kernelILj256ELj1ELj64EN6common18StripedToBlockedOpEnEvPT3_j
	.p2align	8
	.type	_Z20warp_exchange_kernelILj256ELj1ELj64EN6common18StripedToBlockedOpEnEvPT3_j,@function
_Z20warp_exchange_kernelILj256ELj1ELj64EN6common18StripedToBlockedOpEnEvPT3_j: ; @_Z20warp_exchange_kernelILj256ELj1ELj64EN6common18StripedToBlockedOpEnEvPT3_j
; %bb.0:
	s_load_dword s0, s[4:5], 0x8
	v_mov_b32_e32 v1, 0
	v_pk_mov_b32 v[4:5], 0, 0
	s_waitcnt lgkmcnt(0)
	s_cmp_eq_u32 s0, 0
	s_cbranch_scc1 .LBB116_3
; %bb.1:
	v_lshlrev_b32_e32 v2, 4, v0
	v_mbcnt_lo_u32_b32 v3, -1, 0
	v_and_b32_e32 v2, 0xc00, v2
	v_mbcnt_hi_u32_b32 v3, -1, v3
	v_lshl_add_u32 v6, v3, 4, v2
	v_pk_mov_b32 v[2:3], v[0:1], v[0:1] op_sel:[0,1]
.LBB116_2:                              ; =>This Inner Loop Header: Depth=1
	s_waitcnt lgkmcnt(0)
	ds_write_b128 v6, v[2:5]
	; wave barrier
	ds_read_b128 v[2:5], v6
	s_add_i32 s0, s0, -1
	s_cmp_lg_u32 s0, 0
	; wave barrier
	s_cbranch_scc1 .LBB116_2
	s_branch .LBB116_4
.LBB116_3:
	v_pk_mov_b32 v[2:3], v[0:1], v[0:1] op_sel:[0,1]
.LBB116_4:
	s_load_dwordx2 s[0:1], s[4:5], 0x0
	v_lshl_or_b32 v0, s6, 8, v0
	v_mov_b32_e32 v1, 0
	v_lshlrev_b64 v[0:1], 4, v[0:1]
	s_waitcnt lgkmcnt(0)
	v_mov_b32_e32 v6, s1
	v_add_co_u32_e32 v0, vcc, s0, v0
	v_addc_co_u32_e32 v1, vcc, v6, v1, vcc
	global_store_dwordx4 v[0:1], v[2:5], off
	s_endpgm
	.section	.rodata,"a",@progbits
	.p2align	6, 0x0
	.amdhsa_kernel _Z20warp_exchange_kernelILj256ELj1ELj64EN6common18StripedToBlockedOpEnEvPT3_j
		.amdhsa_group_segment_fixed_size 4096
		.amdhsa_private_segment_fixed_size 0
		.amdhsa_kernarg_size 12
		.amdhsa_user_sgpr_count 6
		.amdhsa_user_sgpr_private_segment_buffer 1
		.amdhsa_user_sgpr_dispatch_ptr 0
		.amdhsa_user_sgpr_queue_ptr 0
		.amdhsa_user_sgpr_kernarg_segment_ptr 1
		.amdhsa_user_sgpr_dispatch_id 0
		.amdhsa_user_sgpr_flat_scratch_init 0
		.amdhsa_user_sgpr_kernarg_preload_length 0
		.amdhsa_user_sgpr_kernarg_preload_offset 0
		.amdhsa_user_sgpr_private_segment_size 0
		.amdhsa_uses_dynamic_stack 0
		.amdhsa_system_sgpr_private_segment_wavefront_offset 0
		.amdhsa_system_sgpr_workgroup_id_x 1
		.amdhsa_system_sgpr_workgroup_id_y 0
		.amdhsa_system_sgpr_workgroup_id_z 0
		.amdhsa_system_sgpr_workgroup_info 0
		.amdhsa_system_vgpr_workitem_id 0
		.amdhsa_next_free_vgpr 7
		.amdhsa_next_free_sgpr 7
		.amdhsa_accum_offset 8
		.amdhsa_reserve_vcc 1
		.amdhsa_reserve_flat_scratch 0
		.amdhsa_float_round_mode_32 0
		.amdhsa_float_round_mode_16_64 0
		.amdhsa_float_denorm_mode_32 3
		.amdhsa_float_denorm_mode_16_64 3
		.amdhsa_dx10_clamp 1
		.amdhsa_ieee_mode 1
		.amdhsa_fp16_overflow 0
		.amdhsa_tg_split 0
		.amdhsa_exception_fp_ieee_invalid_op 0
		.amdhsa_exception_fp_denorm_src 0
		.amdhsa_exception_fp_ieee_div_zero 0
		.amdhsa_exception_fp_ieee_overflow 0
		.amdhsa_exception_fp_ieee_underflow 0
		.amdhsa_exception_fp_ieee_inexact 0
		.amdhsa_exception_int_div_zero 0
	.end_amdhsa_kernel
	.section	.text._Z20warp_exchange_kernelILj256ELj1ELj64EN6common18StripedToBlockedOpEnEvPT3_j,"axG",@progbits,_Z20warp_exchange_kernelILj256ELj1ELj64EN6common18StripedToBlockedOpEnEvPT3_j,comdat
.Lfunc_end116:
	.size	_Z20warp_exchange_kernelILj256ELj1ELj64EN6common18StripedToBlockedOpEnEvPT3_j, .Lfunc_end116-_Z20warp_exchange_kernelILj256ELj1ELj64EN6common18StripedToBlockedOpEnEvPT3_j
                                        ; -- End function
	.section	.AMDGPU.csdata,"",@progbits
; Kernel info:
; codeLenInByte = 176
; NumSgprs: 11
; NumVgprs: 7
; NumAgprs: 0
; TotalNumVgprs: 7
; ScratchSize: 0
; MemoryBound: 0
; FloatMode: 240
; IeeeMode: 1
; LDSByteSize: 4096 bytes/workgroup (compile time only)
; SGPRBlocks: 1
; VGPRBlocks: 0
; NumSGPRsForWavesPerEU: 11
; NumVGPRsForWavesPerEU: 7
; AccumOffset: 8
; Occupancy: 8
; WaveLimiterHint : 0
; COMPUTE_PGM_RSRC2:SCRATCH_EN: 0
; COMPUTE_PGM_RSRC2:USER_SGPR: 6
; COMPUTE_PGM_RSRC2:TRAP_HANDLER: 0
; COMPUTE_PGM_RSRC2:TGID_X_EN: 1
; COMPUTE_PGM_RSRC2:TGID_Y_EN: 0
; COMPUTE_PGM_RSRC2:TGID_Z_EN: 0
; COMPUTE_PGM_RSRC2:TIDIG_COMP_CNT: 0
; COMPUTE_PGM_RSRC3_GFX90A:ACCUM_OFFSET: 1
; COMPUTE_PGM_RSRC3_GFX90A:TG_SPLIT: 0
	.section	.text._Z20warp_exchange_kernelILj256ELj4ELj64EN6common18StripedToBlockedOpEnEvPT3_j,"axG",@progbits,_Z20warp_exchange_kernelILj256ELj4ELj64EN6common18StripedToBlockedOpEnEvPT3_j,comdat
	.protected	_Z20warp_exchange_kernelILj256ELj4ELj64EN6common18StripedToBlockedOpEnEvPT3_j ; -- Begin function _Z20warp_exchange_kernelILj256ELj4ELj64EN6common18StripedToBlockedOpEnEvPT3_j
	.globl	_Z20warp_exchange_kernelILj256ELj4ELj64EN6common18StripedToBlockedOpEnEvPT3_j
	.p2align	8
	.type	_Z20warp_exchange_kernelILj256ELj4ELj64EN6common18StripedToBlockedOpEnEvPT3_j,@function
_Z20warp_exchange_kernelILj256ELj4ELj64EN6common18StripedToBlockedOpEnEvPT3_j: ; @_Z20warp_exchange_kernelILj256ELj4ELj64EN6common18StripedToBlockedOpEnEvPT3_j
; %bb.0:
	s_load_dword s0, s[4:5], 0x8
	v_lshlrev_b32_e32 v18, 2, v0
	v_or_b32_e32 v10, 1, v18
	v_or_b32_e32 v6, 2, v18
	;; [unrolled: 1-line block ×3, first 2 shown]
	s_waitcnt lgkmcnt(0)
	s_cmp_eq_u32 s0, 0
	s_cbranch_scc1 .LBB117_3
; %bb.1:
	v_lshlrev_b32_e32 v0, 6, v0
	v_mov_b32_e32 v3, 0
	v_and_b32_e32 v1, 0x3000, v0
	v_mbcnt_lo_u32_b32 v0, -1, 0
	v_pk_mov_b32 v[4:5], 0, 0
	v_mov_b32_e32 v19, v3
	v_mbcnt_hi_u32_b32 v8, -1, v0
	v_pk_mov_b32 v[16:17], 0, 0
	v_mov_b32_e32 v7, v3
	v_mov_b32_e32 v11, v3
	v_lshl_or_b32 v0, v8, 4, v1
	v_lshl_add_u32 v1, v8, 6, v1
	v_pk_mov_b32 v[8:9], v[4:5], v[4:5] op_sel:[0,1]
	v_pk_mov_b32 v[12:13], v[4:5], v[4:5] op_sel:[0,1]
	;; [unrolled: 1-line block ×3, first 2 shown]
.LBB117_2:                              ; =>This Inner Loop Header: Depth=1
	s_waitcnt lgkmcnt(3)
	ds_write_b128 v0, v[14:17]
	s_waitcnt lgkmcnt(3)
	ds_write_b128 v0, v[10:13] offset:1024
	s_waitcnt lgkmcnt(3)
	ds_write_b128 v0, v[6:9] offset:2048
	;; [unrolled: 2-line block ×3, first 2 shown]
	; wave barrier
	ds_read_b128 v[14:17], v1
	ds_read_b128 v[10:13], v1 offset:16
	ds_read_b128 v[6:9], v1 offset:32
	;; [unrolled: 1-line block ×3, first 2 shown]
	s_add_i32 s0, s0, -1
	s_cmp_lg_u32 s0, 0
	; wave barrier
	s_cbranch_scc1 .LBB117_2
	s_branch .LBB117_4
.LBB117_3:
	v_mov_b32_e32 v19, 0
	v_pk_mov_b32 v[16:17], 0, 0
	v_pk_mov_b32 v[4:5], 0, 0
	v_mov_b32_e32 v11, v19
	v_mov_b32_e32 v7, v19
	;; [unrolled: 1-line block ×3, first 2 shown]
	v_pk_mov_b32 v[14:15], v[18:19], v[18:19] op_sel:[0,1]
	v_pk_mov_b32 v[12:13], v[16:17], v[16:17] op_sel:[0,1]
	;; [unrolled: 1-line block ×3, first 2 shown]
.LBB117_4:
	s_load_dwordx2 s[0:1], s[4:5], 0x0
	v_lshl_or_b32 v0, s6, 10, v18
	v_mov_b32_e32 v1, 0
	v_lshlrev_b64 v[0:1], 4, v[0:1]
	s_waitcnt lgkmcnt(0)
	v_mov_b32_e32 v18, s1
	v_add_co_u32_e32 v0, vcc, s0, v0
	v_addc_co_u32_e32 v1, vcc, v18, v1, vcc
	global_store_dwordx4 v[0:1], v[14:17], off
	global_store_dwordx4 v[0:1], v[10:13], off offset:16
	global_store_dwordx4 v[0:1], v[6:9], off offset:32
	;; [unrolled: 1-line block ×3, first 2 shown]
	s_endpgm
	.section	.rodata,"a",@progbits
	.p2align	6, 0x0
	.amdhsa_kernel _Z20warp_exchange_kernelILj256ELj4ELj64EN6common18StripedToBlockedOpEnEvPT3_j
		.amdhsa_group_segment_fixed_size 16384
		.amdhsa_private_segment_fixed_size 0
		.amdhsa_kernarg_size 12
		.amdhsa_user_sgpr_count 6
		.amdhsa_user_sgpr_private_segment_buffer 1
		.amdhsa_user_sgpr_dispatch_ptr 0
		.amdhsa_user_sgpr_queue_ptr 0
		.amdhsa_user_sgpr_kernarg_segment_ptr 1
		.amdhsa_user_sgpr_dispatch_id 0
		.amdhsa_user_sgpr_flat_scratch_init 0
		.amdhsa_user_sgpr_kernarg_preload_length 0
		.amdhsa_user_sgpr_kernarg_preload_offset 0
		.amdhsa_user_sgpr_private_segment_size 0
		.amdhsa_uses_dynamic_stack 0
		.amdhsa_system_sgpr_private_segment_wavefront_offset 0
		.amdhsa_system_sgpr_workgroup_id_x 1
		.amdhsa_system_sgpr_workgroup_id_y 0
		.amdhsa_system_sgpr_workgroup_id_z 0
		.amdhsa_system_sgpr_workgroup_info 0
		.amdhsa_system_vgpr_workitem_id 0
		.amdhsa_next_free_vgpr 20
		.amdhsa_next_free_sgpr 7
		.amdhsa_accum_offset 20
		.amdhsa_reserve_vcc 1
		.amdhsa_reserve_flat_scratch 0
		.amdhsa_float_round_mode_32 0
		.amdhsa_float_round_mode_16_64 0
		.amdhsa_float_denorm_mode_32 3
		.amdhsa_float_denorm_mode_16_64 3
		.amdhsa_dx10_clamp 1
		.amdhsa_ieee_mode 1
		.amdhsa_fp16_overflow 0
		.amdhsa_tg_split 0
		.amdhsa_exception_fp_ieee_invalid_op 0
		.amdhsa_exception_fp_denorm_src 0
		.amdhsa_exception_fp_ieee_div_zero 0
		.amdhsa_exception_fp_ieee_overflow 0
		.amdhsa_exception_fp_ieee_underflow 0
		.amdhsa_exception_fp_ieee_inexact 0
		.amdhsa_exception_int_div_zero 0
	.end_amdhsa_kernel
	.section	.text._Z20warp_exchange_kernelILj256ELj4ELj64EN6common18StripedToBlockedOpEnEvPT3_j,"axG",@progbits,_Z20warp_exchange_kernelILj256ELj4ELj64EN6common18StripedToBlockedOpEnEvPT3_j,comdat
.Lfunc_end117:
	.size	_Z20warp_exchange_kernelILj256ELj4ELj64EN6common18StripedToBlockedOpEnEvPT3_j, .Lfunc_end117-_Z20warp_exchange_kernelILj256ELj4ELj64EN6common18StripedToBlockedOpEnEvPT3_j
                                        ; -- End function
	.section	.AMDGPU.csdata,"",@progbits
; Kernel info:
; codeLenInByte = 368
; NumSgprs: 11
; NumVgprs: 20
; NumAgprs: 0
; TotalNumVgprs: 20
; ScratchSize: 0
; MemoryBound: 0
; FloatMode: 240
; IeeeMode: 1
; LDSByteSize: 16384 bytes/workgroup (compile time only)
; SGPRBlocks: 1
; VGPRBlocks: 2
; NumSGPRsForWavesPerEU: 11
; NumVGPRsForWavesPerEU: 20
; AccumOffset: 20
; Occupancy: 4
; WaveLimiterHint : 0
; COMPUTE_PGM_RSRC2:SCRATCH_EN: 0
; COMPUTE_PGM_RSRC2:USER_SGPR: 6
; COMPUTE_PGM_RSRC2:TRAP_HANDLER: 0
; COMPUTE_PGM_RSRC2:TGID_X_EN: 1
; COMPUTE_PGM_RSRC2:TGID_Y_EN: 0
; COMPUTE_PGM_RSRC2:TGID_Z_EN: 0
; COMPUTE_PGM_RSRC2:TIDIG_COMP_CNT: 0
; COMPUTE_PGM_RSRC3_GFX90A:ACCUM_OFFSET: 4
; COMPUTE_PGM_RSRC3_GFX90A:TG_SPLIT: 0
	.section	.text._Z20warp_exchange_kernelILj256ELj16ELj64EN6common18StripedToBlockedOpEnEvPT3_j,"axG",@progbits,_Z20warp_exchange_kernelILj256ELj16ELj64EN6common18StripedToBlockedOpEnEvPT3_j,comdat
	.protected	_Z20warp_exchange_kernelILj256ELj16ELj64EN6common18StripedToBlockedOpEnEvPT3_j ; -- Begin function _Z20warp_exchange_kernelILj256ELj16ELj64EN6common18StripedToBlockedOpEnEvPT3_j
	.globl	_Z20warp_exchange_kernelILj256ELj16ELj64EN6common18StripedToBlockedOpEnEvPT3_j
	.p2align	8
	.type	_Z20warp_exchange_kernelILj256ELj16ELj64EN6common18StripedToBlockedOpEnEvPT3_j,@function
_Z20warp_exchange_kernelILj256ELj16ELj64EN6common18StripedToBlockedOpEnEvPT3_j: ; @_Z20warp_exchange_kernelILj256ELj16ELj64EN6common18StripedToBlockedOpEnEvPT3_j
; %bb.0:
	s_load_dword s0, s[4:5], 0x8
	v_lshlrev_b32_e32 v66, 4, v0
	v_or_b32_e32 v58, 1, v66
	v_or_b32_e32 v46, 2, v66
	;; [unrolled: 1-line block ×14, first 2 shown]
	s_waitcnt lgkmcnt(0)
	s_cmp_eq_u32 s0, 0
	v_or_b32_e32 v2, 15, v66
	s_cbranch_scc1 .LBB118_3
; %bb.1:
	v_lshlrev_b32_e32 v0, 8, v0
	v_mov_b32_e32 v3, 0
	v_and_b32_e32 v1, 0xc000, v0
	v_mbcnt_lo_u32_b32 v0, -1, 0
	v_pk_mov_b32 v[4:5], 0, 0
	v_mov_b32_e32 v67, v3
	v_mbcnt_hi_u32_b32 v8, -1, v0
	v_pk_mov_b32 v[64:65], 0, 0
	v_mov_b32_e32 v7, v3
	v_mov_b32_e32 v11, v3
	;; [unrolled: 1-line block ×14, first 2 shown]
	v_lshl_or_b32 v0, v8, 4, v1
	v_lshl_add_u32 v1, v8, 8, v1
	v_pk_mov_b32 v[8:9], v[4:5], v[4:5] op_sel:[0,1]
	v_pk_mov_b32 v[12:13], v[4:5], v[4:5] op_sel:[0,1]
	;; [unrolled: 1-line block ×15, first 2 shown]
.LBB118_2:                              ; =>This Inner Loop Header: Depth=1
	s_waitcnt lgkmcnt(14)
	ds_write_b128 v0, v[62:65]
	ds_write_b128 v0, v[58:61] offset:1024
	s_waitcnt lgkmcnt(14)
	ds_write_b128 v0, v[46:49] offset:2048
	ds_write_b128 v0, v[34:37] offset:3072
	s_waitcnt lgkmcnt(14)
	ds_write_b128 v0, v[54:57] offset:4096
	;; [unrolled: 3-line block ×7, first 2 shown]
	ds_write_b128 v0, v[2:5] offset:15360
	; wave barrier
	ds_read_b128 v[62:65], v1
	ds_read_b128 v[58:61], v1 offset:16
	ds_read_b128 v[46:49], v1 offset:32
	ds_read_b128 v[34:37], v1 offset:48
	ds_read_b128 v[54:57], v1 offset:64
	ds_read_b128 v[50:53], v1 offset:80
	ds_read_b128 v[42:45], v1 offset:96
	ds_read_b128 v[38:41], v1 offset:112
	ds_read_b128 v[30:33], v1 offset:128
	ds_read_b128 v[26:29], v1 offset:144
	ds_read_b128 v[22:25], v1 offset:160
	ds_read_b128 v[18:21], v1 offset:176
	ds_read_b128 v[14:17], v1 offset:192
	ds_read_b128 v[10:13], v1 offset:208
	ds_read_b128 v[6:9], v1 offset:224
	ds_read_b128 v[2:5], v1 offset:240
	s_add_i32 s0, s0, -1
	s_cmp_lg_u32 s0, 0
	; wave barrier
	s_cbranch_scc1 .LBB118_2
	s_branch .LBB118_4
.LBB118_3:
	v_mov_b32_e32 v67, 0
	v_pk_mov_b32 v[64:65], 0, 0
	v_pk_mov_b32 v[4:5], 0, 0
	v_mov_b32_e32 v59, v67
	v_mov_b32_e32 v47, v67
	;; [unrolled: 1-line block ×15, first 2 shown]
	v_pk_mov_b32 v[62:63], v[66:67], v[66:67] op_sel:[0,1]
	v_pk_mov_b32 v[60:61], v[64:65], v[64:65] op_sel:[0,1]
	;; [unrolled: 1-line block ×15, first 2 shown]
.LBB118_4:
	s_load_dwordx2 s[0:1], s[4:5], 0x0
	v_lshl_or_b32 v0, s6, 12, v66
	v_mov_b32_e32 v1, 0
	v_lshlrev_b64 v[0:1], 4, v[0:1]
	s_waitcnt lgkmcnt(0)
	v_mov_b32_e32 v66, s1
	v_add_co_u32_e32 v0, vcc, s0, v0
	v_addc_co_u32_e32 v1, vcc, v66, v1, vcc
	global_store_dwordx4 v[0:1], v[62:65], off
	global_store_dwordx4 v[0:1], v[58:61], off offset:16
	global_store_dwordx4 v[0:1], v[46:49], off offset:32
	;; [unrolled: 1-line block ×15, first 2 shown]
	s_endpgm
	.section	.rodata,"a",@progbits
	.p2align	6, 0x0
	.amdhsa_kernel _Z20warp_exchange_kernelILj256ELj16ELj64EN6common18StripedToBlockedOpEnEvPT3_j
		.amdhsa_group_segment_fixed_size 65536
		.amdhsa_private_segment_fixed_size 0
		.amdhsa_kernarg_size 12
		.amdhsa_user_sgpr_count 6
		.amdhsa_user_sgpr_private_segment_buffer 1
		.amdhsa_user_sgpr_dispatch_ptr 0
		.amdhsa_user_sgpr_queue_ptr 0
		.amdhsa_user_sgpr_kernarg_segment_ptr 1
		.amdhsa_user_sgpr_dispatch_id 0
		.amdhsa_user_sgpr_flat_scratch_init 0
		.amdhsa_user_sgpr_kernarg_preload_length 0
		.amdhsa_user_sgpr_kernarg_preload_offset 0
		.amdhsa_user_sgpr_private_segment_size 0
		.amdhsa_uses_dynamic_stack 0
		.amdhsa_system_sgpr_private_segment_wavefront_offset 0
		.amdhsa_system_sgpr_workgroup_id_x 1
		.amdhsa_system_sgpr_workgroup_id_y 0
		.amdhsa_system_sgpr_workgroup_id_z 0
		.amdhsa_system_sgpr_workgroup_info 0
		.amdhsa_system_vgpr_workitem_id 0
		.amdhsa_next_free_vgpr 68
		.amdhsa_next_free_sgpr 7
		.amdhsa_accum_offset 68
		.amdhsa_reserve_vcc 1
		.amdhsa_reserve_flat_scratch 0
		.amdhsa_float_round_mode_32 0
		.amdhsa_float_round_mode_16_64 0
		.amdhsa_float_denorm_mode_32 3
		.amdhsa_float_denorm_mode_16_64 3
		.amdhsa_dx10_clamp 1
		.amdhsa_ieee_mode 1
		.amdhsa_fp16_overflow 0
		.amdhsa_tg_split 0
		.amdhsa_exception_fp_ieee_invalid_op 0
		.amdhsa_exception_fp_denorm_src 0
		.amdhsa_exception_fp_ieee_div_zero 0
		.amdhsa_exception_fp_ieee_overflow 0
		.amdhsa_exception_fp_ieee_underflow 0
		.amdhsa_exception_fp_ieee_inexact 0
		.amdhsa_exception_int_div_zero 0
	.end_amdhsa_kernel
	.section	.text._Z20warp_exchange_kernelILj256ELj16ELj64EN6common18StripedToBlockedOpEnEvPT3_j,"axG",@progbits,_Z20warp_exchange_kernelILj256ELj16ELj64EN6common18StripedToBlockedOpEnEvPT3_j,comdat
.Lfunc_end118:
	.size	_Z20warp_exchange_kernelILj256ELj16ELj64EN6common18StripedToBlockedOpEnEvPT3_j, .Lfunc_end118-_Z20warp_exchange_kernelILj256ELj16ELj64EN6common18StripedToBlockedOpEnEvPT3_j
                                        ; -- End function
	.section	.AMDGPU.csdata,"",@progbits
; Kernel info:
; codeLenInByte = 1008
; NumSgprs: 11
; NumVgprs: 68
; NumAgprs: 0
; TotalNumVgprs: 68
; ScratchSize: 0
; MemoryBound: 1
; FloatMode: 240
; IeeeMode: 1
; LDSByteSize: 65536 bytes/workgroup (compile time only)
; SGPRBlocks: 1
; VGPRBlocks: 8
; NumSGPRsForWavesPerEU: 11
; NumVGPRsForWavesPerEU: 68
; AccumOffset: 68
; Occupancy: 1
; WaveLimiterHint : 1
; COMPUTE_PGM_RSRC2:SCRATCH_EN: 0
; COMPUTE_PGM_RSRC2:USER_SGPR: 6
; COMPUTE_PGM_RSRC2:TRAP_HANDLER: 0
; COMPUTE_PGM_RSRC2:TGID_X_EN: 1
; COMPUTE_PGM_RSRC2:TGID_Y_EN: 0
; COMPUTE_PGM_RSRC2:TGID_Z_EN: 0
; COMPUTE_PGM_RSRC2:TIDIG_COMP_CNT: 0
; COMPUTE_PGM_RSRC3_GFX90A:ACCUM_OFFSET: 16
; COMPUTE_PGM_RSRC3_GFX90A:TG_SPLIT: 0
	.section	.text._Z20warp_exchange_kernelILj256ELj1ELj64EN6common25BlockedToStripedShuffleOpEnEvPT3_j,"axG",@progbits,_Z20warp_exchange_kernelILj256ELj1ELj64EN6common25BlockedToStripedShuffleOpEnEvPT3_j,comdat
	.protected	_Z20warp_exchange_kernelILj256ELj1ELj64EN6common25BlockedToStripedShuffleOpEnEvPT3_j ; -- Begin function _Z20warp_exchange_kernelILj256ELj1ELj64EN6common25BlockedToStripedShuffleOpEnEvPT3_j
	.globl	_Z20warp_exchange_kernelILj256ELj1ELj64EN6common25BlockedToStripedShuffleOpEnEvPT3_j
	.p2align	8
	.type	_Z20warp_exchange_kernelILj256ELj1ELj64EN6common25BlockedToStripedShuffleOpEnEvPT3_j,@function
_Z20warp_exchange_kernelILj256ELj1ELj64EN6common25BlockedToStripedShuffleOpEnEvPT3_j: ; @_Z20warp_exchange_kernelILj256ELj1ELj64EN6common25BlockedToStripedShuffleOpEnEvPT3_j
; %bb.0:
	s_load_dword s0, s[4:5], 0x8
	v_mov_b32_e32 v5, 0
	s_waitcnt lgkmcnt(0)
	s_cmp_eq_u32 s0, 0
	s_cbranch_scc1 .LBB119_3
; %bb.1:
	v_mbcnt_lo_u32_b32 v1, -1, 0
	v_mbcnt_hi_u32_b32 v1, -1, v1
	v_lshlrev_b32_e32 v1, 2, v1
	v_mov_b32_e32 v2, v0
	v_mov_b32_e32 v3, 0
	;; [unrolled: 1-line block ×3, first 2 shown]
.LBB119_2:                              ; =>This Inner Loop Header: Depth=1
	s_waitcnt lgkmcnt(3)
	ds_bpermute_b32 v2, v1, v2
	s_waitcnt lgkmcnt(3)
	ds_bpermute_b32 v3, v1, v3
	;; [unrolled: 2-line block ×4, first 2 shown]
	s_add_i32 s0, s0, -1
	s_cmp_lg_u32 s0, 0
	; wave barrier
	s_cbranch_scc1 .LBB119_2
	s_branch .LBB119_4
.LBB119_3:
	v_mov_b32_e32 v2, v0
	v_mov_b32_e32 v3, 0
	;; [unrolled: 1-line block ×3, first 2 shown]
.LBB119_4:
	s_load_dwordx2 s[0:1], s[4:5], 0x0
	v_lshl_or_b32 v0, s6, 8, v0
	v_mov_b32_e32 v1, 0
	v_lshlrev_b64 v[0:1], 4, v[0:1]
	s_waitcnt lgkmcnt(0)
	v_mov_b32_e32 v6, s1
	v_add_co_u32_e32 v0, vcc, s0, v0
	v_addc_co_u32_e32 v1, vcc, v6, v1, vcc
	global_store_dwordx4 v[0:1], v[2:5], off
	s_endpgm
	.section	.rodata,"a",@progbits
	.p2align	6, 0x0
	.amdhsa_kernel _Z20warp_exchange_kernelILj256ELj1ELj64EN6common25BlockedToStripedShuffleOpEnEvPT3_j
		.amdhsa_group_segment_fixed_size 0
		.amdhsa_private_segment_fixed_size 0
		.amdhsa_kernarg_size 12
		.amdhsa_user_sgpr_count 6
		.amdhsa_user_sgpr_private_segment_buffer 1
		.amdhsa_user_sgpr_dispatch_ptr 0
		.amdhsa_user_sgpr_queue_ptr 0
		.amdhsa_user_sgpr_kernarg_segment_ptr 1
		.amdhsa_user_sgpr_dispatch_id 0
		.amdhsa_user_sgpr_flat_scratch_init 0
		.amdhsa_user_sgpr_kernarg_preload_length 0
		.amdhsa_user_sgpr_kernarg_preload_offset 0
		.amdhsa_user_sgpr_private_segment_size 0
		.amdhsa_uses_dynamic_stack 0
		.amdhsa_system_sgpr_private_segment_wavefront_offset 0
		.amdhsa_system_sgpr_workgroup_id_x 1
		.amdhsa_system_sgpr_workgroup_id_y 0
		.amdhsa_system_sgpr_workgroup_id_z 0
		.amdhsa_system_sgpr_workgroup_info 0
		.amdhsa_system_vgpr_workitem_id 0
		.amdhsa_next_free_vgpr 7
		.amdhsa_next_free_sgpr 7
		.amdhsa_accum_offset 8
		.amdhsa_reserve_vcc 1
		.amdhsa_reserve_flat_scratch 0
		.amdhsa_float_round_mode_32 0
		.amdhsa_float_round_mode_16_64 0
		.amdhsa_float_denorm_mode_32 3
		.amdhsa_float_denorm_mode_16_64 3
		.amdhsa_dx10_clamp 1
		.amdhsa_ieee_mode 1
		.amdhsa_fp16_overflow 0
		.amdhsa_tg_split 0
		.amdhsa_exception_fp_ieee_invalid_op 0
		.amdhsa_exception_fp_denorm_src 0
		.amdhsa_exception_fp_ieee_div_zero 0
		.amdhsa_exception_fp_ieee_overflow 0
		.amdhsa_exception_fp_ieee_underflow 0
		.amdhsa_exception_fp_ieee_inexact 0
		.amdhsa_exception_int_div_zero 0
	.end_amdhsa_kernel
	.section	.text._Z20warp_exchange_kernelILj256ELj1ELj64EN6common25BlockedToStripedShuffleOpEnEvPT3_j,"axG",@progbits,_Z20warp_exchange_kernelILj256ELj1ELj64EN6common25BlockedToStripedShuffleOpEnEvPT3_j,comdat
.Lfunc_end119:
	.size	_Z20warp_exchange_kernelILj256ELj1ELj64EN6common25BlockedToStripedShuffleOpEnEvPT3_j, .Lfunc_end119-_Z20warp_exchange_kernelILj256ELj1ELj64EN6common25BlockedToStripedShuffleOpEnEvPT3_j
                                        ; -- End function
	.section	.AMDGPU.csdata,"",@progbits
; Kernel info:
; codeLenInByte = 188
; NumSgprs: 11
; NumVgprs: 7
; NumAgprs: 0
; TotalNumVgprs: 7
; ScratchSize: 0
; MemoryBound: 0
; FloatMode: 240
; IeeeMode: 1
; LDSByteSize: 0 bytes/workgroup (compile time only)
; SGPRBlocks: 1
; VGPRBlocks: 0
; NumSGPRsForWavesPerEU: 11
; NumVGPRsForWavesPerEU: 7
; AccumOffset: 8
; Occupancy: 8
; WaveLimiterHint : 0
; COMPUTE_PGM_RSRC2:SCRATCH_EN: 0
; COMPUTE_PGM_RSRC2:USER_SGPR: 6
; COMPUTE_PGM_RSRC2:TRAP_HANDLER: 0
; COMPUTE_PGM_RSRC2:TGID_X_EN: 1
; COMPUTE_PGM_RSRC2:TGID_Y_EN: 0
; COMPUTE_PGM_RSRC2:TGID_Z_EN: 0
; COMPUTE_PGM_RSRC2:TIDIG_COMP_CNT: 0
; COMPUTE_PGM_RSRC3_GFX90A:ACCUM_OFFSET: 1
; COMPUTE_PGM_RSRC3_GFX90A:TG_SPLIT: 0
	.section	.text._Z20warp_exchange_kernelILj256ELj4ELj64EN6common25BlockedToStripedShuffleOpEnEvPT3_j,"axG",@progbits,_Z20warp_exchange_kernelILj256ELj4ELj64EN6common25BlockedToStripedShuffleOpEnEvPT3_j,comdat
	.protected	_Z20warp_exchange_kernelILj256ELj4ELj64EN6common25BlockedToStripedShuffleOpEnEvPT3_j ; -- Begin function _Z20warp_exchange_kernelILj256ELj4ELj64EN6common25BlockedToStripedShuffleOpEnEvPT3_j
	.globl	_Z20warp_exchange_kernelILj256ELj4ELj64EN6common25BlockedToStripedShuffleOpEnEvPT3_j
	.p2align	8
	.type	_Z20warp_exchange_kernelILj256ELj4ELj64EN6common25BlockedToStripedShuffleOpEnEvPT3_j,@function
_Z20warp_exchange_kernelILj256ELj4ELj64EN6common25BlockedToStripedShuffleOpEnEvPT3_j: ; @_Z20warp_exchange_kernelILj256ELj4ELj64EN6common25BlockedToStripedShuffleOpEnEvPT3_j
; %bb.0:
	s_load_dword s7, s[4:5], 0x8
	v_lshlrev_b32_e32 v16, 2, v0
	v_mov_b32_e32 v17, 0
	v_or_b32_e32 v22, 1, v16
	v_or_b32_e32 v20, 2, v16
	s_waitcnt lgkmcnt(0)
	s_cmp_eq_u32 s7, 0
	v_or_b32_e32 v18, 3, v16
	s_cbranch_scc1 .LBB120_27
; %bb.1:
	v_mbcnt_lo_u32_b32 v0, -1, 0
	v_mbcnt_hi_u32_b32 v0, -1, v0
	v_lshrrev_b32_e32 v1, 2, v0
	v_and_b32_e32 v2, 64, v0
	v_and_b32_e32 v0, 3, v0
	v_or_b32_e32 v3, v1, v2
	v_cmp_eq_u32_e32 vcc, 0, v0
	v_cmp_eq_u32_e64 s[0:1], 1, v0
	v_cmp_eq_u32_e64 s[2:3], 2, v0
	;; [unrolled: 1-line block ×3, first 2 shown]
	v_add_u32_e32 v0, 48, v1
	v_lshlrev_b32_e32 v26, 2, v3
	v_and_or_b32 v0, v0, 63, v2
	v_add_u32_e32 v27, 64, v26
	v_or_b32_e32 v28, 0x80, v26
	v_lshlrev_b32_e32 v29, 2, v0
	v_mov_b32_e32 v30, 0
	v_mov_b32_e32 v31, 0
	;; [unrolled: 1-line block ×12, first 2 shown]
	s_branch .LBB120_3
.LBB120_2:                              ;   in Loop: Header=BB120_3 Depth=1
	s_or_b64 exec, exec, s[10:11]
	s_add_i32 s7, s7, -1
	s_cmp_lg_u32 s7, 0
	s_waitcnt lgkmcnt(3)
	v_mov_b32_e32 v18, v12
	v_mov_b32_e32 v17, v13
	;; [unrolled: 1-line block ×4, first 2 shown]
	s_waitcnt lgkmcnt(1)
	v_mov_b32_e32 v20, v8
	v_mov_b32_e32 v19, v9
	;; [unrolled: 1-line block ×5, first 2 shown]
	s_waitcnt lgkmcnt(0)
	v_mov_b32_e32 v21, v5
	v_mov_b32_e32 v24, v6
	;; [unrolled: 1-line block ×7, first 2 shown]
	; wave barrier
	s_cbranch_scc0 .LBB120_28
.LBB120_3:                              ; =>This Inner Loop Header: Depth=1
	ds_bpermute_b32 v0, v26, v23
	ds_bpermute_b32 v1, v26, v34
	;; [unrolled: 1-line block ×4, first 2 shown]
	s_and_saveexec_b64 s[10:11], vcc
	s_or_b64 exec, exec, s[10:11]
	ds_bpermute_b32 v4, v26, v22
	ds_bpermute_b32 v5, v26, v21
	;; [unrolled: 1-line block ×4, first 2 shown]
	s_and_saveexec_b64 s[10:11], s[0:1]
	s_cbranch_execz .LBB120_5
; %bb.4:                                ;   in Loop: Header=BB120_3 Depth=1
	s_waitcnt lgkmcnt(2)
	v_pk_mov_b32 v[0:1], v[4:5], v[4:5] op_sel:[0,1]
	s_waitcnt lgkmcnt(0)
	v_pk_mov_b32 v[2:3], v[6:7], v[6:7] op_sel:[0,1]
.LBB120_5:                              ;   in Loop: Header=BB120_3 Depth=1
	s_or_b64 exec, exec, s[10:11]
	s_waitcnt lgkmcnt(3)
	ds_bpermute_b32 v4, v26, v20
	s_waitcnt lgkmcnt(3)
	ds_bpermute_b32 v5, v26, v19
	s_waitcnt lgkmcnt(3)
	ds_bpermute_b32 v6, v26, v32
	s_waitcnt lgkmcnt(3)
	ds_bpermute_b32 v7, v26, v33
	s_and_saveexec_b64 s[10:11], s[2:3]
	s_cbranch_execz .LBB120_7
; %bb.6:                                ;   in Loop: Header=BB120_3 Depth=1
	s_waitcnt lgkmcnt(2)
	v_pk_mov_b32 v[0:1], v[4:5], v[4:5] op_sel:[0,1]
	s_waitcnt lgkmcnt(0)
	v_pk_mov_b32 v[2:3], v[6:7], v[6:7] op_sel:[0,1]
.LBB120_7:                              ;   in Loop: Header=BB120_3 Depth=1
	s_or_b64 exec, exec, s[10:11]
	s_waitcnt lgkmcnt(3)
	ds_bpermute_b32 v4, v26, v18
	s_waitcnt lgkmcnt(3)
	ds_bpermute_b32 v5, v26, v17
	s_waitcnt lgkmcnt(3)
	ds_bpermute_b32 v6, v26, v30
	s_waitcnt lgkmcnt(3)
	ds_bpermute_b32 v7, v26, v31
	;; [unrolled: 17-line block ×3, first 2 shown]
	s_and_saveexec_b64 s[10:11], vcc
	s_or_b64 exec, exec, s[10:11]
	ds_bpermute_b32 v8, v27, v22
	ds_bpermute_b32 v9, v27, v21
	;; [unrolled: 1-line block ×4, first 2 shown]
	s_and_saveexec_b64 s[10:11], s[0:1]
	s_cbranch_execz .LBB120_11
; %bb.10:                               ;   in Loop: Header=BB120_3 Depth=1
	s_waitcnt lgkmcnt(2)
	v_pk_mov_b32 v[4:5], v[8:9], v[8:9] op_sel:[0,1]
	s_waitcnt lgkmcnt(0)
	v_pk_mov_b32 v[6:7], v[10:11], v[10:11] op_sel:[0,1]
.LBB120_11:                             ;   in Loop: Header=BB120_3 Depth=1
	s_or_b64 exec, exec, s[10:11]
	s_waitcnt lgkmcnt(3)
	ds_bpermute_b32 v8, v27, v20
	s_waitcnt lgkmcnt(3)
	ds_bpermute_b32 v9, v27, v19
	s_waitcnt lgkmcnt(3)
	ds_bpermute_b32 v10, v27, v32
	s_waitcnt lgkmcnt(3)
	ds_bpermute_b32 v11, v27, v33
	s_and_saveexec_b64 s[10:11], s[2:3]
	s_cbranch_execz .LBB120_13
; %bb.12:                               ;   in Loop: Header=BB120_3 Depth=1
	s_waitcnt lgkmcnt(2)
	v_pk_mov_b32 v[4:5], v[8:9], v[8:9] op_sel:[0,1]
	s_waitcnt lgkmcnt(0)
	v_pk_mov_b32 v[6:7], v[10:11], v[10:11] op_sel:[0,1]
.LBB120_13:                             ;   in Loop: Header=BB120_3 Depth=1
	s_or_b64 exec, exec, s[10:11]
	s_waitcnt lgkmcnt(3)
	ds_bpermute_b32 v8, v27, v18
	s_waitcnt lgkmcnt(3)
	ds_bpermute_b32 v9, v27, v17
	s_waitcnt lgkmcnt(3)
	ds_bpermute_b32 v10, v27, v30
	s_waitcnt lgkmcnt(3)
	ds_bpermute_b32 v11, v27, v31
	;; [unrolled: 17-line block ×3, first 2 shown]
	s_and_saveexec_b64 s[10:11], vcc
	s_or_b64 exec, exec, s[10:11]
	ds_bpermute_b32 v12, v28, v22
	ds_bpermute_b32 v13, v28, v21
	;; [unrolled: 1-line block ×4, first 2 shown]
	s_and_saveexec_b64 s[10:11], s[0:1]
	s_cbranch_execz .LBB120_17
; %bb.16:                               ;   in Loop: Header=BB120_3 Depth=1
	s_waitcnt lgkmcnt(2)
	v_pk_mov_b32 v[8:9], v[12:13], v[12:13] op_sel:[0,1]
	s_waitcnt lgkmcnt(0)
	v_pk_mov_b32 v[10:11], v[14:15], v[14:15] op_sel:[0,1]
.LBB120_17:                             ;   in Loop: Header=BB120_3 Depth=1
	s_or_b64 exec, exec, s[10:11]
	s_waitcnt lgkmcnt(3)
	ds_bpermute_b32 v12, v28, v20
	s_waitcnt lgkmcnt(3)
	ds_bpermute_b32 v13, v28, v19
	s_waitcnt lgkmcnt(3)
	ds_bpermute_b32 v14, v28, v32
	s_waitcnt lgkmcnt(3)
	ds_bpermute_b32 v15, v28, v33
	s_and_saveexec_b64 s[10:11], s[2:3]
	s_cbranch_execz .LBB120_19
; %bb.18:                               ;   in Loop: Header=BB120_3 Depth=1
	s_waitcnt lgkmcnt(2)
	v_pk_mov_b32 v[8:9], v[12:13], v[12:13] op_sel:[0,1]
	s_waitcnt lgkmcnt(0)
	v_pk_mov_b32 v[10:11], v[14:15], v[14:15] op_sel:[0,1]
.LBB120_19:                             ;   in Loop: Header=BB120_3 Depth=1
	s_or_b64 exec, exec, s[10:11]
	s_waitcnt lgkmcnt(3)
	ds_bpermute_b32 v12, v28, v18
	s_waitcnt lgkmcnt(3)
	ds_bpermute_b32 v13, v28, v17
	s_waitcnt lgkmcnt(3)
	ds_bpermute_b32 v14, v28, v30
	s_waitcnt lgkmcnt(3)
	ds_bpermute_b32 v15, v28, v31
	;; [unrolled: 17-line block ×3, first 2 shown]
	s_and_saveexec_b64 s[10:11], vcc
	s_or_b64 exec, exec, s[10:11]
	ds_bpermute_b32 v22, v29, v22
	ds_bpermute_b32 v23, v29, v21
	;; [unrolled: 1-line block ×4, first 2 shown]
	s_and_saveexec_b64 s[10:11], s[0:1]
	s_cbranch_execz .LBB120_23
; %bb.22:                               ;   in Loop: Header=BB120_3 Depth=1
	s_waitcnt lgkmcnt(2)
	v_pk_mov_b32 v[12:13], v[22:23], v[22:23] op_sel:[0,1]
	s_waitcnt lgkmcnt(0)
	v_pk_mov_b32 v[14:15], v[24:25], v[24:25] op_sel:[0,1]
.LBB120_23:                             ;   in Loop: Header=BB120_3 Depth=1
	s_or_b64 exec, exec, s[10:11]
	ds_bpermute_b32 v20, v29, v20
	ds_bpermute_b32 v21, v29, v19
	s_waitcnt lgkmcnt(5)
	ds_bpermute_b32 v22, v29, v32
	s_waitcnt lgkmcnt(5)
	ds_bpermute_b32 v23, v29, v33
	s_and_saveexec_b64 s[10:11], s[2:3]
	s_cbranch_execz .LBB120_25
; %bb.24:                               ;   in Loop: Header=BB120_3 Depth=1
	s_waitcnt lgkmcnt(2)
	v_pk_mov_b32 v[12:13], v[20:21], v[20:21] op_sel:[0,1]
	s_waitcnt lgkmcnt(0)
	v_pk_mov_b32 v[14:15], v[22:23], v[22:23] op_sel:[0,1]
.LBB120_25:                             ;   in Loop: Header=BB120_3 Depth=1
	s_or_b64 exec, exec, s[10:11]
	ds_bpermute_b32 v18, v29, v18
	ds_bpermute_b32 v19, v29, v17
	s_waitcnt lgkmcnt(5)
	ds_bpermute_b32 v20, v29, v30
	s_waitcnt lgkmcnt(5)
	ds_bpermute_b32 v21, v29, v31
	s_and_saveexec_b64 s[10:11], s[8:9]
	s_cbranch_execz .LBB120_2
; %bb.26:                               ;   in Loop: Header=BB120_3 Depth=1
	s_waitcnt lgkmcnt(2)
	v_pk_mov_b32 v[12:13], v[18:19], v[18:19] op_sel:[0,1]
	s_waitcnt lgkmcnt(0)
	v_pk_mov_b32 v[14:15], v[20:21], v[20:21] op_sel:[0,1]
	s_branch .LBB120_2
.LBB120_27:
	v_pk_mov_b32 v[2:3], 0, 0
	v_mov_b32_e32 v23, v17
	v_mov_b32_e32 v21, v17
	;; [unrolled: 1-line block ×3, first 2 shown]
	v_pk_mov_b32 v[14:15], 0, 0
	v_pk_mov_b32 v[0:1], v[16:17], v[16:17] op_sel:[0,1]
	v_pk_mov_b32 v[4:5], v[22:23], v[22:23] op_sel:[0,1]
	;; [unrolled: 1-line block ×6, first 2 shown]
.LBB120_28:
	s_load_dwordx2 s[0:1], s[4:5], 0x0
	v_lshl_or_b32 v16, s6, 10, v16
	v_mov_b32_e32 v17, 0
	v_lshlrev_b64 v[16:17], 4, v[16:17]
	s_waitcnt lgkmcnt(0)
	v_mov_b32_e32 v18, s1
	v_add_co_u32_e32 v16, vcc, s0, v16
	v_addc_co_u32_e32 v17, vcc, v18, v17, vcc
	global_store_dwordx4 v[16:17], v[0:3], off
	global_store_dwordx4 v[16:17], v[4:7], off offset:16
	global_store_dwordx4 v[16:17], v[8:11], off offset:32
	;; [unrolled: 1-line block ×3, first 2 shown]
	s_endpgm
	.section	.rodata,"a",@progbits
	.p2align	6, 0x0
	.amdhsa_kernel _Z20warp_exchange_kernelILj256ELj4ELj64EN6common25BlockedToStripedShuffleOpEnEvPT3_j
		.amdhsa_group_segment_fixed_size 0
		.amdhsa_private_segment_fixed_size 0
		.amdhsa_kernarg_size 12
		.amdhsa_user_sgpr_count 6
		.amdhsa_user_sgpr_private_segment_buffer 1
		.amdhsa_user_sgpr_dispatch_ptr 0
		.amdhsa_user_sgpr_queue_ptr 0
		.amdhsa_user_sgpr_kernarg_segment_ptr 1
		.amdhsa_user_sgpr_dispatch_id 0
		.amdhsa_user_sgpr_flat_scratch_init 0
		.amdhsa_user_sgpr_kernarg_preload_length 0
		.amdhsa_user_sgpr_kernarg_preload_offset 0
		.amdhsa_user_sgpr_private_segment_size 0
		.amdhsa_uses_dynamic_stack 0
		.amdhsa_system_sgpr_private_segment_wavefront_offset 0
		.amdhsa_system_sgpr_workgroup_id_x 1
		.amdhsa_system_sgpr_workgroup_id_y 0
		.amdhsa_system_sgpr_workgroup_id_z 0
		.amdhsa_system_sgpr_workgroup_info 0
		.amdhsa_system_vgpr_workitem_id 0
		.amdhsa_next_free_vgpr 37
		.amdhsa_next_free_sgpr 12
		.amdhsa_accum_offset 40
		.amdhsa_reserve_vcc 1
		.amdhsa_reserve_flat_scratch 0
		.amdhsa_float_round_mode_32 0
		.amdhsa_float_round_mode_16_64 0
		.amdhsa_float_denorm_mode_32 3
		.amdhsa_float_denorm_mode_16_64 3
		.amdhsa_dx10_clamp 1
		.amdhsa_ieee_mode 1
		.amdhsa_fp16_overflow 0
		.amdhsa_tg_split 0
		.amdhsa_exception_fp_ieee_invalid_op 0
		.amdhsa_exception_fp_denorm_src 0
		.amdhsa_exception_fp_ieee_div_zero 0
		.amdhsa_exception_fp_ieee_overflow 0
		.amdhsa_exception_fp_ieee_underflow 0
		.amdhsa_exception_fp_ieee_inexact 0
		.amdhsa_exception_int_div_zero 0
	.end_amdhsa_kernel
	.section	.text._Z20warp_exchange_kernelILj256ELj4ELj64EN6common25BlockedToStripedShuffleOpEnEvPT3_j,"axG",@progbits,_Z20warp_exchange_kernelILj256ELj4ELj64EN6common25BlockedToStripedShuffleOpEnEvPT3_j,comdat
.Lfunc_end120:
	.size	_Z20warp_exchange_kernelILj256ELj4ELj64EN6common25BlockedToStripedShuffleOpEnEvPT3_j, .Lfunc_end120-_Z20warp_exchange_kernelILj256ELj4ELj64EN6common25BlockedToStripedShuffleOpEnEvPT3_j
                                        ; -- End function
	.section	.AMDGPU.csdata,"",@progbits
; Kernel info:
; codeLenInByte = 1568
; NumSgprs: 16
; NumVgprs: 37
; NumAgprs: 0
; TotalNumVgprs: 37
; ScratchSize: 0
; MemoryBound: 0
; FloatMode: 240
; IeeeMode: 1
; LDSByteSize: 0 bytes/workgroup (compile time only)
; SGPRBlocks: 1
; VGPRBlocks: 4
; NumSGPRsForWavesPerEU: 16
; NumVGPRsForWavesPerEU: 37
; AccumOffset: 40
; Occupancy: 8
; WaveLimiterHint : 0
; COMPUTE_PGM_RSRC2:SCRATCH_EN: 0
; COMPUTE_PGM_RSRC2:USER_SGPR: 6
; COMPUTE_PGM_RSRC2:TRAP_HANDLER: 0
; COMPUTE_PGM_RSRC2:TGID_X_EN: 1
; COMPUTE_PGM_RSRC2:TGID_Y_EN: 0
; COMPUTE_PGM_RSRC2:TGID_Z_EN: 0
; COMPUTE_PGM_RSRC2:TIDIG_COMP_CNT: 0
; COMPUTE_PGM_RSRC3_GFX90A:ACCUM_OFFSET: 9
; COMPUTE_PGM_RSRC3_GFX90A:TG_SPLIT: 0
	.section	.text._Z20warp_exchange_kernelILj256ELj16ELj64EN6common25BlockedToStripedShuffleOpEnEvPT3_j,"axG",@progbits,_Z20warp_exchange_kernelILj256ELj16ELj64EN6common25BlockedToStripedShuffleOpEnEvPT3_j,comdat
	.protected	_Z20warp_exchange_kernelILj256ELj16ELj64EN6common25BlockedToStripedShuffleOpEnEvPT3_j ; -- Begin function _Z20warp_exchange_kernelILj256ELj16ELj64EN6common25BlockedToStripedShuffleOpEnEvPT3_j
	.globl	_Z20warp_exchange_kernelILj256ELj16ELj64EN6common25BlockedToStripedShuffleOpEnEvPT3_j
	.p2align	8
	.type	_Z20warp_exchange_kernelILj256ELj16ELj64EN6common25BlockedToStripedShuffleOpEnEvPT3_j,@function
_Z20warp_exchange_kernelILj256ELj16ELj64EN6common25BlockedToStripedShuffleOpEnEvPT3_j: ; @_Z20warp_exchange_kernelILj256ELj16ELj64EN6common25BlockedToStripedShuffleOpEnEvPT3_j
; %bb.0:
	s_load_dword s6, s[4:5], 0x8
	s_add_u32 s0, s0, s9
	s_addc_u32 s1, s1, 0
	v_lshlrev_b32_e32 v64, 4, v0
	v_or_b32_e32 v48, 1, v64
	v_or_b32_e32 v44, 2, v64
	;; [unrolled: 1-line block ×14, first 2 shown]
	s_waitcnt lgkmcnt(0)
	s_cmp_eq_u32 s6, 0
	v_or_b32_e32 v16, 15, v64
	v_mov_b32_e32 v65, 0
	s_cbranch_scc1 .LBB121_4
; %bb.1:
	v_mbcnt_lo_u32_b32 v2, -1, 0
	v_mbcnt_hi_u32_b32 v2, -1, v2
	v_and_b32_e32 v3, 3, v2
	v_mov_b32_e32 v6, 0
	v_lshl_add_u32 v33, v3, 4, v6
	v_add_u32_e32 v7, -1, v2
	v_xor_b32_e32 v3, 2, v3
	v_and_b32_e32 v7, 3, v7
	v_lshl_add_u32 v67, v3, 4, v6
	v_add_u32_e32 v3, 3, v3
	v_lshl_add_u32 v66, v7, 4, v6
	v_and_b32_e32 v7, 3, v3
	v_lshlrev_b32_e32 v3, 4, v3
	v_lshl_add_u32 v68, v7, 4, v6
	v_or_b32_e32 v6, 64, v3
	v_or_b32_e32 v3, 0xc0, v3
	v_add_u32_e32 v69, 0, v6
	v_add_u32_e32 v70, 0, v3
	v_and_b32_e32 v3, 64, v2
	v_add_u32_e32 v6, 60, v2
	v_and_or_b32 v6, v6, 63, v3
	v_lshlrev_b32_e32 v71, 2, v6
	v_add_u32_e32 v6, 56, v2
	v_and_or_b32 v6, v6, 63, v3
	v_lshlrev_b32_e32 v72, 2, v6
	;; [unrolled: 3-line block ×7, first 2 shown]
	v_lshlrev_b32_e32 v6, 2, v2
	v_xor_b32_e32 v78, 0x80, v6
	v_add_u32_e32 v6, 28, v2
	v_and_or_b32 v6, v6, 63, v3
	v_lshlrev_b32_e32 v79, 2, v6
	v_add_u32_e32 v6, 24, v2
	v_and_or_b32 v6, v6, 63, v3
	v_lshlrev_b32_e32 v80, 2, v6
	;; [unrolled: 3-line block ×7, first 2 shown]
	v_lshrrev_b32_e32 v3, 2, v2
	v_add_u32_e32 v7, -1, v3
	v_mov_b32_e32 v6, 0x100
	v_and_b32_e32 v7, 15, v7
	v_lshl_add_u32 v87, v7, 4, v6
	v_add_u32_e32 v7, 14, v3
	v_and_b32_e32 v7, 15, v7
	v_lshl_add_u32 v88, v7, 4, v6
	v_add_u32_e32 v7, 13, v3
	;; [unrolled: 3-line block ×4, first 2 shown]
	v_and_b32_e32 v7, 15, v7
	v_bfe_u32 v2, v2, 2, 4
	v_lshl_add_u32 v91, v7, 4, v6
	v_add_u32_e32 v7, 10, v3
	v_add_u32_e32 v3, 9, v3
	v_lshl_add_u32 v86, v2, 4, v6
	v_and_b32_e32 v3, 15, v3
	v_xor_b32_e32 v2, 8, v2
	v_lshl_add_u32 v93, v3, 4, v6
	v_add_u32_e32 v3, -1, v2
	v_and_b32_e32 v3, 15, v3
	v_lshl_add_u32 v95, v3, 4, v6
	v_add_u32_e32 v3, 14, v2
	v_and_b32_e32 v3, 15, v3
	v_lshl_add_u32 v96, v3, 4, v6
	v_add_u32_e32 v3, 13, v2
	;; [unrolled: 3-line block ×4, first 2 shown]
	v_and_b32_e32 v3, 15, v3
	v_lshl_add_u32 v94, v2, 4, v6
	v_lshl_add_u32 v99, v3, 4, v6
	v_add_u32_e32 v3, 10, v2
	v_add_u32_e32 v2, 9, v2
	v_and_b32_e32 v7, 15, v7
	v_and_b32_e32 v3, 15, v3
	;; [unrolled: 1-line block ×3, first 2 shown]
	v_mov_b32_e32 v17, v65
	v_pk_mov_b32 v[18:19], 0, 0
	v_mov_b32_e32 v25, v65
	v_mov_b32_e32 v53, v65
	;; [unrolled: 1-line block ×6, first 2 shown]
	v_lshl_add_u32 v92, v7, 4, v6
	v_lshl_add_u32 v100, v3, 4, v6
	;; [unrolled: 1-line block ×3, first 2 shown]
	v_pk_mov_b32 v[26:27], 0, 0
	v_pk_mov_b32 v[54:55], 0, 0
	;; [unrolled: 1-line block ×6, first 2 shown]
	v_mov_b32_e32 v13, v65
	v_pk_mov_b32 v[14:15], 0, 0
	v_mov_b32_e32 v29, v65
	v_pk_mov_b32 v[30:31], 0, 0
	v_mov_b32_e32 v34, v65
	v_mov_b32_e32 v35, v65
	;; [unrolled: 1-line block ×6, first 2 shown]
	v_pk_mov_b32 v[58:59], 0, 0
	v_mov_b32_e32 v41, v65
	v_mov_b32_e32 v42, v65
	;; [unrolled: 1-line block ×9, first 2 shown]
	v_pk_mov_b32 v[62:63], 0, 0
	v_pk_mov_b32 v[60:61], v[64:65], v[64:65] op_sel:[0,1]
.LBB121_2:                              ; =>This Inner Loop Header: Depth=1
	s_waitcnt vmcnt(2)
	buffer_store_dword v61, off, s[0:3], 0 offset:4
	buffer_store_dword v60, off, s[0:3], 0
	s_waitcnt vmcnt(2)
	buffer_store_dword v63, off, s[0:3], 0 offset:12
	buffer_store_dword v62, off, s[0:3], 0 offset:8
	s_waitcnt lgkmcnt(14)
	buffer_store_dword v57, off, s[0:3], 0 offset:68
	buffer_store_dword v56, off, s[0:3], 0 offset:64
	;; [unrolled: 1-line block ×4, first 2 shown]
	s_waitcnt lgkmcnt(10)
	buffer_store_dword v53, off, s[0:3], 0 offset:212
	buffer_store_dword v52, off, s[0:3], 0 offset:208
	s_waitcnt lgkmcnt(8)
	buffer_store_dword v55, off, s[0:3], 0 offset:220
	buffer_store_dword v54, off, s[0:3], 0 offset:216
	;; [unrolled: 3-line block ×3, first 2 shown]
	v_mov_b32_dpp v24, v48 quad_perm:[3,0,1,2] row_mask:0xf bank_mask:0xf
	v_mov_b32_dpp v25, v49 quad_perm:[3,0,1,2] row_mask:0xf bank_mask:0xf
	v_mov_b32_dpp v49, v51 quad_perm:[3,0,1,2] row_mask:0xf bank_mask:0xf
	v_mov_b32_dpp v48, v50 quad_perm:[3,0,1,2] row_mask:0xf bank_mask:0xf
	buffer_store_dword v49, off, s[0:3], 0 offset:28
	buffer_store_dword v48, off, s[0:3], 0 offset:24
	buffer_store_dword v25, off, s[0:3], 0 offset:20
	buffer_store_dword v24, off, s[0:3], 0 offset:16
	v_mov_b32_dpp v24, v44 quad_perm:[2,3,0,1] row_mask:0xf bank_mask:0xf
	v_mov_b32_dpp v25, v45 quad_perm:[2,3,0,1] row_mask:0xf bank_mask:0xf
	v_mov_b32_dpp v45, v47 quad_perm:[2,3,0,1] row_mask:0xf bank_mask:0xf
	v_mov_b32_dpp v44, v46 quad_perm:[2,3,0,1] row_mask:0xf bank_mask:0xf
	buffer_store_dword v45, off, s[0:3], 0 offset:44
	buffer_store_dword v44, off, s[0:3], 0 offset:40
	buffer_store_dword v25, off, s[0:3], 0 offset:36
	buffer_store_dword v24, off, s[0:3], 0 offset:32
	v_mov_b32_dpp v24, v40 quad_perm:[1,2,3,0] row_mask:0xf bank_mask:0xf
	v_mov_b32_dpp v25, v41 quad_perm:[1,2,3,0] row_mask:0xf bank_mask:0xf
	v_mov_b32_dpp v41, v43 quad_perm:[1,2,3,0] row_mask:0xf bank_mask:0xf
	v_mov_b32_dpp v40, v42 quad_perm:[1,2,3,0] row_mask:0xf bank_mask:0xf
	buffer_store_dword v41, off, s[0:3], 0 offset:60
	buffer_store_dword v40, off, s[0:3], 0 offset:56
	buffer_store_dword v25, off, s[0:3], 0 offset:52
	buffer_store_dword v24, off, s[0:3], 0 offset:48
	v_mov_b32_dpp v24, v36 quad_perm:[3,0,1,2] row_mask:0xf bank_mask:0xf
	v_mov_b32_dpp v25, v37 quad_perm:[3,0,1,2] row_mask:0xf bank_mask:0xf
	v_mov_b32_dpp v37, v39 quad_perm:[3,0,1,2] row_mask:0xf bank_mask:0xf
	v_mov_b32_dpp v36, v38 quad_perm:[3,0,1,2] row_mask:0xf bank_mask:0xf
	buffer_store_dword v37, off, s[0:3], 0 offset:92
	buffer_store_dword v36, off, s[0:3], 0 offset:88
	buffer_store_dword v25, off, s[0:3], 0 offset:84
	buffer_store_dword v24, off, s[0:3], 0 offset:80
	v_mov_b32_dpp v24, v32 quad_perm:[2,3,0,1] row_mask:0xf bank_mask:0xf
	v_mov_b32_dpp v32, v34 quad_perm:[2,3,0,1] row_mask:0xf bank_mask:0xf
	v_mov_b32_dpp v34, v35 quad_perm:[2,3,0,1] row_mask:0xf bank_mask:0xf
	v_mov_b32_dpp v25, v65 quad_perm:[2,3,0,1] row_mask:0xf bank_mask:0xf
	buffer_store_dword v34, off, s[0:3], 0 offset:108
	buffer_store_dword v32, off, s[0:3], 0 offset:104
	buffer_store_dword v25, off, s[0:3], 0 offset:100
	buffer_store_dword v24, off, s[0:3], 0 offset:96
	v_mov_b32_dpp v24, v28 quad_perm:[1,2,3,0] row_mask:0xf bank_mask:0xf
	v_mov_b32_dpp v25, v29 quad_perm:[1,2,3,0] row_mask:0xf bank_mask:0xf
	buffer_load_dword v28, v68, s[0:3], 0 offen offset:4
	v_mov_b32_dpp v29, v30 quad_perm:[1,2,3,0] row_mask:0xf bank_mask:0xf
	v_mov_b32_dpp v30, v31 quad_perm:[1,2,3,0] row_mask:0xf bank_mask:0xf
	buffer_load_dword v31, off, s[0:3], 0 offset:208
	buffer_load_dword v32, off, s[0:3], 0 offset:212
	;; [unrolled: 1-line block ×4, first 2 shown]
	s_nop 0
	buffer_store_dword v25, off, s[0:3], 0 offset:116
	buffer_store_dword v24, off, s[0:3], 0 offset:112
	;; [unrolled: 1-line block ×4, first 2 shown]
	s_waitcnt lgkmcnt(5)
	buffer_store_dword v26, off, s[0:3], 0 offset:232
	buffer_load_dword v24, v69, s[0:3], 0 offen offset:12
	buffer_load_dword v25, off, s[0:3], 0 offset:224
	s_nop 0
	buffer_load_dword v26, off, s[0:3], 0 offset:228
	buffer_load_dword v29, off, s[0:3], 0 offset:232
	v_mov_b32_dpp v9, v9 quad_perm:[3,0,1,2] row_mask:0xf bank_mask:0xf
	s_waitcnt lgkmcnt(4)
	buffer_store_dword v27, off, s[0:3], 0 offset:236
	buffer_load_dword v27, off, s[0:3], 0 offset:236
	s_waitcnt lgkmcnt(0)
	buffer_store_dword v19, off, s[0:3], 0 offset:252
	buffer_store_dword v18, off, s[0:3], 0 offset:248
	buffer_load_dword v30, off, s[0:3], 0 offset:248
	buffer_load_dword v36, off, s[0:3], 0 offset:252
	s_nop 0
	buffer_load_dword v18, v69, s[0:3], 0 offen
	buffer_load_dword v19, v69, s[0:3], 0 offen offset:8
	s_nop 0
	buffer_store_dword v21, off, s[0:3], 0 offset:196
	buffer_store_dword v20, off, s[0:3], 0 offset:192
	;; [unrolled: 1-line block ×6, first 2 shown]
	v_mov_b32_dpp v16, v16 quad_perm:[1,2,3,0] row_mask:0xf bank_mask:0xf
	v_mov_b32_dpp v17, v17 quad_perm:[1,2,3,0] row_mask:0xf bank_mask:0xf
	;; [unrolled: 1-line block ×5, first 2 shown]
	s_add_i32 s6, s6, -1
	s_cmp_eq_u32 s6, 0
	s_waitcnt vmcnt(26)
	v_mov_b32_dpp v21, v31 quad_perm:[3,0,1,2] row_mask:0xf bank_mask:0xf
	v_mov_b32_dpp v20, v28 quad_perm:[3,0,1,2] row_mask:0xf bank_mask:0xf
	buffer_store_dword v20, off, s[0:3], 0 offset:452
	s_waitcnt vmcnt(26)
	v_mov_b32_dpp v22, v32 quad_perm:[3,0,1,2] row_mask:0xf bank_mask:0xf
	s_waitcnt vmcnt(25)
	v_mov_b32_dpp v23, v34 quad_perm:[3,0,1,2] row_mask:0xf bank_mask:0xf
	buffer_load_dword v20, off, s[0:3], 0 offset:452
	s_waitcnt vmcnt(25)
	v_mov_b32_dpp v28, v35 quad_perm:[3,0,1,2] row_mask:0xf bank_mask:0xf
	buffer_store_dword v21, off, s[0:3], 0 offset:208
	buffer_store_dword v22, off, s[0:3], 0 offset:212
	;; [unrolled: 1-line block ×4, first 2 shown]
	s_waitcnt vmcnt(23)
	buffer_store_dword v24, off, s[0:3], 0 offset:476
	s_waitcnt vmcnt(23)
	v_mov_b32_dpp v22, v25 quad_perm:[2,3,0,1] row_mask:0xf bank_mask:0xf
	s_waitcnt vmcnt(22)
	v_mov_b32_dpp v23, v26 quad_perm:[2,3,0,1] row_mask:0xf bank_mask:0xf
	buffer_load_dword v21, off, s[0:3], 0 offset:476
	s_waitcnt vmcnt(22)
	v_mov_b32_dpp v24, v29 quad_perm:[2,3,0,1] row_mask:0xf bank_mask:0xf
	buffer_load_dword v25, v33, s[0:3], 0 offen offset:4
	buffer_load_dword v26, v33, s[0:3], 0 offen offset:68
	buffer_load_dword v28, v66, s[0:3], 0 offen
	buffer_load_dword v29, v66, s[0:3], 0 offen offset:4
	buffer_load_dword v31, v66, s[0:3], 0 offen offset:8
	s_waitcnt vmcnt(25)
	v_mov_b32_dpp v27, v27 quad_perm:[2,3,0,1] row_mask:0xf bank_mask:0xf
	buffer_store_dword v22, off, s[0:3], 0 offset:224
	buffer_store_dword v23, off, s[0:3], 0 offset:228
	;; [unrolled: 1-line block ×4, first 2 shown]
	s_waitcnt vmcnt(25)
	v_mov_b32_dpp v23, v36 quad_perm:[1,2,3,0] row_mask:0xf bank_mask:0xf
	v_mov_b32_dpp v22, v30 quad_perm:[1,2,3,0] row_mask:0xf bank_mask:0xf
	buffer_store_dword v23, off, s[0:3], 0 offset:252
	buffer_store_dword v22, off, s[0:3], 0 offset:248
	;; [unrolled: 1-line block ×5, first 2 shown]
	buffer_load_dword v16, v67, s[0:3], 0 offen offset:196
	s_nop 0
	buffer_load_dword v2, off, s[0:3], 0 offset:184
	buffer_load_dword v17, v67, s[0:3], 0 offen offset:200
	s_waitcnt vmcnt(17)
	v_mov_b32_dpp v21, v21 quad_perm:[3,0,1,2] row_mask:0xf bank_mask:0xf
	buffer_store_dword v3, off, s[0:3], 0 offset:188
	buffer_load_dword v3, off, s[0:3], 0 offset:188
	s_nop 0
	buffer_store_dword v13, off, s[0:3], 0 offset:132
	buffer_store_dword v12, off, s[0:3], 0 offset:128
	;; [unrolled: 1-line block ×10, first 2 shown]
	v_mov_b32_dpp v4, v4 quad_perm:[2,3,0,1] row_mask:0xf bank_mask:0xf
	v_mov_b32_dpp v5, v5 quad_perm:[2,3,0,1] row_mask:0xf bank_mask:0xf
	;; [unrolled: 1-line block ×5, first 2 shown]
	buffer_store_dword v9, off, s[0:3], 0 offset:148
	buffer_store_dword v8, off, s[0:3], 0 offset:144
	buffer_store_dword v11, off, s[0:3], 0 offset:156
	buffer_store_dword v10, off, s[0:3], 0 offset:152
	buffer_store_dword v7, off, s[0:3], 0 offset:172
	buffer_store_dword v6, off, s[0:3], 0 offset:168
	buffer_store_dword v5, off, s[0:3], 0 offset:164
	buffer_store_dword v4, off, s[0:3], 0 offset:160
	v_mov_b32_dpp v1, v1 quad_perm:[1,2,3,0] row_mask:0xf bank_mask:0xf
	buffer_load_dword v4, v67, s[0:3], 0 offen offset:12
	buffer_load_dword v5, v67, s[0:3], 0 offen offset:64
	;; [unrolled: 1-line block ×5, first 2 shown]
	buffer_load_dword v9, v68, s[0:3], 0 offen
	buffer_load_dword v10, v68, s[0:3], 0 offen offset:12
	buffer_load_dword v11, v69, s[0:3], 0 offen offset:4
	buffer_load_dword v12, v70, s[0:3], 0 offen
	buffer_load_dword v13, v70, s[0:3], 0 offen offset:4
	buffer_load_dword v14, v70, s[0:3], 0 offen offset:8
	s_waitcnt vmcnt(32)
	v_mov_b32_dpp v2, v2 quad_perm:[1,2,3,0] row_mask:0xf bank_mask:0xf
	buffer_store_dword v16, off, s[0:3], 0 offset:436
	s_waitcnt vmcnt(32)
	buffer_store_dword v17, off, s[0:3], 0 offset:440
	buffer_store_dword v0, off, s[0:3], 0 offset:176
	buffer_load_dword v15, off, s[0:3], 0 offset:436
	s_waitcnt vmcnt(33)
	v_mov_b32_dpp v3, v3 quad_perm:[1,2,3,0] row_mask:0xf bank_mask:0xf
	buffer_load_dword v16, off, s[0:3], 0 offset:440
	buffer_load_dword v0, v66, s[0:3], 0 offen offset:192
	buffer_load_dword v17, v66, s[0:3], 0 offen offset:196
	;; [unrolled: 1-line block ×4, first 2 shown]
	s_waitcnt vmcnt(14)
	v_mov_b32_dpp v9, v9 quad_perm:[3,0,1,2] row_mask:0xf bank_mask:0xf
	buffer_store_dword v1, off, s[0:3], 0 offset:180
	buffer_load_dword v1, v67, s[0:3], 0 offen
	s_nop 0
	buffer_load_dword v24, v67, s[0:3], 0 offen offset:4
	buffer_load_dword v27, v67, s[0:3], 0 offen offset:8
	s_nop 0
	buffer_store_dword v2, off, s[0:3], 0 offset:184
	buffer_store_dword v3, off, s[0:3], 0 offset:188
	buffer_load_dword v2, v67, s[0:3], 0 offen offset:136
	s_nop 0
	buffer_load_dword v3, v33, s[0:3], 0 offen offset:64
	buffer_load_dword v30, v67, s[0:3], 0 offen offset:132
	;; [unrolled: 1-line block ×30, first 2 shown]
	buffer_load_dword v61, v33, s[0:3], 0 offen
	buffer_load_dword v62, v33, s[0:3], 0 offen offset:12
	buffer_load_dword v63, v68, s[0:3], 0 offen offset:8
	s_nop 0
	buffer_store_dword v26, off, s[0:3], 0 offset:276
	buffer_store_dword v4, off, s[0:3], 0 offset:396
	;; [unrolled: 1-line block ×6, first 2 shown]
	buffer_load_dword v4, off, s[0:3], 0 offset:400
	s_nop 0
	buffer_load_dword v5, off, s[0:3], 0 offset:404
	buffer_load_dword v6, off, s[0:3], 0 offset:408
	;; [unrolled: 1-line block ×3, first 2 shown]
	s_waitcnt vmcnt(50)
	buffer_store_dword v23, off, s[0:3], 0 offset:380
	buffer_store_dword v22, off, s[0:3], 0 offset:376
	;; [unrolled: 1-line block ×4, first 2 shown]
	s_waitcnt vmcnt(50)
	buffer_store_dword v27, off, s[0:3], 0 offset:392
	buffer_store_dword v24, off, s[0:3], 0 offset:388
	;; [unrolled: 1-line block ×3, first 2 shown]
	s_waitcnt vmcnt(50)
	buffer_store_dword v2, off, s[0:3], 0 offset:424
	buffer_load_dword v0, off, s[0:3], 0 offset:368
	buffer_load_dword v1, off, s[0:3], 0 offset:372
	s_nop 0
	buffer_load_dword v2, off, s[0:3], 0 offset:376
	buffer_load_dword v8, off, s[0:3], 0 offset:380
	;; [unrolled: 1-line block ×7, first 2 shown]
	s_waitcnt vmcnt(59)
	buffer_store_dword v3, off, s[0:3], 0 offset:272
	buffer_store_dword v19, off, s[0:3], 0 offset:472
	;; [unrolled: 1-line block ×3, first 2 shown]
	v_mov_b32_dpp v3, v28 quad_perm:[1,2,3,0] row_mask:0xf bank_mask:0xf
	v_mov_b32_dpp v28, v31 quad_perm:[1,2,3,0] row_mask:0xf bank_mask:0xf
	;; [unrolled: 1-line block ×3, first 2 shown]
	buffer_store_dword v28, off, s[0:3], 0 offset:328
	buffer_store_dword v27, off, s[0:3], 0 offset:324
	;; [unrolled: 1-line block ×4, first 2 shown]
	s_waitcnt vmcnt(62)
	buffer_store_dword v30, off, s[0:3], 0 offset:420
	buffer_load_dword v3, off, s[0:3], 0 offset:420
	s_nop 0
	buffer_store_dword v32, off, s[0:3], 0 offset:508
	buffer_store_dword v34, off, s[0:3], 0 offset:444
	buffer_load_dword v27, off, s[0:3], 0 offset:444
	s_waitcnt vmcnt(62)
	v_mov_b32_dpp v28, v37 quad_perm:[1,2,3,0] row_mask:0xf bank_mask:0xf
	buffer_store_dword v14, off, s[0:3], 0 offset:504
	buffer_store_dword v13, off, s[0:3], 0 offset:500
	;; [unrolled: 1-line block ×5, first 2 shown]
	v_mov_b32_dpp v29, v38 quad_perm:[1,2,3,0] row_mask:0xf bank_mask:0xf
	buffer_store_dword v28, off, s[0:3], 0 offset:332
	buffer_store_dword v29, off, s[0:3], 0 offset:348
	;; [unrolled: 1-line block ×3, first 2 shown]
	s_waitcnt vmcnt(62)
	buffer_store_dword v41, off, s[0:3], 0 offset:296
	buffer_store_dword v42, off, s[0:3], 0 offset:292
	;; [unrolled: 1-line block ×9, first 2 shown]
	s_waitcnt vmcnt(62)
	buffer_store_dword v49, off, s[0:3], 0 offset:432
	buffer_store_dword v51, off, s[0:3], 0 offset:492
	;; [unrolled: 1-line block ×5, first 2 shown]
	buffer_load_dword v37, off, s[0:3], 0 offset:428
	v_mov_b32_dpp v30, v57 quad_perm:[1,2,3,0] row_mask:0xf bank_mask:0xf
	v_mov_b32_dpp v28, v55 quad_perm:[1,2,3,0] row_mask:0xf bank_mask:0xf
	;; [unrolled: 1-line block ×4, first 2 shown]
	s_waitcnt vmcnt(62)
	v_mov_b32_dpp v32, v58 quad_perm:[1,2,3,0] row_mask:0xf bank_mask:0xf
	v_mov_b32_dpp v34, v59 quad_perm:[1,2,3,0] row_mask:0xf bank_mask:0xf
	;; [unrolled: 1-line block ×5, first 2 shown]
	buffer_store_dword v30, off, s[0:3], 0 offset:344
	buffer_store_dword v29, off, s[0:3], 0 offset:340
	;; [unrolled: 1-line block ×9, first 2 shown]
	s_waitcnt vmcnt(61)
	v_mov_b32_dpp v7, v7 quad_perm:[2,3,0,1] row_mask:0xf bank_mask:0xf
	buffer_load_dword v28, off, s[0:3], 0 offset:432
	buffer_load_dword v29, off, s[0:3], 0 offset:416
	v_mov_b32_dpp v4, v4 quad_perm:[2,3,0,1] row_mask:0xf bank_mask:0xf
	v_mov_b32_dpp v5, v5 quad_perm:[2,3,0,1] row_mask:0xf bank_mask:0xf
	;; [unrolled: 1-line block ×3, first 2 shown]
	buffer_store_dword v7, off, s[0:3], 0 offset:412
	buffer_store_dword v6, off, s[0:3], 0 offset:408
	;; [unrolled: 1-line block ×4, first 2 shown]
	buffer_load_dword v4, off, s[0:3], 0 offset:400
	s_nop 0
	buffer_load_dword v5, off, s[0:3], 0 offset:404
	buffer_load_dword v6, off, s[0:3], 0 offset:408
	v_mov_b32_dpp v16, v16 quad_perm:[2,3,0,1] row_mask:0xf bank_mask:0xf
	v_mov_b32_dpp v10, v10 quad_perm:[3,0,1,2] row_mask:0xf bank_mask:0xf
	;; [unrolled: 1-line block ×5, first 2 shown]
	s_waitcnt vmcnt(61)
	v_mov_b32_dpp v0, v0 quad_perm:[1,2,3,0] row_mask:0xf bank_mask:0xf
	s_waitcnt vmcnt(60)
	v_mov_b32_dpp v1, v1 quad_perm:[1,2,3,0] row_mask:0xf bank_mask:0xf
	;; [unrolled: 2-line block ×9, first 2 shown]
	buffer_store_dword v7, off, s[0:3], 0 offset:380
	buffer_store_dword v2, off, s[0:3], 0 offset:376
	;; [unrolled: 1-line block ×9, first 2 shown]
	buffer_load_dword v0, off, s[0:3], 0 offset:424
	buffer_load_dword v1, off, s[0:3], 0 offset:412
	v_mov_b32_dpp v7, v19 quad_perm:[3,0,1,2] row_mask:0xf bank_mask:0xf
	v_mov_b32_dpp v19, v52 quad_perm:[3,0,1,2] row_mask:0xf bank_mask:0xf
	s_waitcnt vmcnt(55)
	v_mov_b32_dpp v2, v3 quad_perm:[2,3,0,1] row_mask:0xf bank_mask:0xf
	buffer_store_dword v2, off, s[0:3], 0 offset:420
	s_waitcnt vmcnt(53)
	v_mov_b32_dpp v3, v27 quad_perm:[2,3,0,1] row_mask:0xf bank_mask:0xf
	v_mov_b32_dpp v2, v15 quad_perm:[2,3,0,1] row_mask:0xf bank_mask:0xf
	buffer_store_dword v3, off, s[0:3], 0 offset:444
	buffer_store_dword v2, off, s[0:3], 0 offset:436
	buffer_load_dword v2, off, s[0:3], 0 offset:492
	v_mov_b32_dpp v3, v63 quad_perm:[3,0,1,2] row_mask:0xf bank_mask:0xf
	buffer_store_dword v3, off, s[0:3], 0 offset:456
	buffer_load_dword v8, v33, s[0:3], 0 offen offset:8
	buffer_load_dword v15, off, s[0:3], 0 offset:508
	v_mov_b32_dpp v3, v18 quad_perm:[3,0,1,2] row_mask:0xf bank_mask:0xf
	buffer_store_dword v7, off, s[0:3], 0 offset:472
	buffer_store_dword v3, off, s[0:3], 0 offset:464
	buffer_load_dword v3, off, s[0:3], 0 offset:272
	s_nop 0
	buffer_load_dword v7, off, s[0:3], 0 offset:276
	buffer_load_dword v17, off, s[0:3], 0 offset:280
	;; [unrolled: 1-line block ×3, first 2 shown]
	s_waitcnt vmcnt(42)
	v_mov_b32_dpp v37, v37 quad_perm:[2,3,0,1] row_mask:0xf bank_mask:0xf
	buffer_store_dword v19, off, s[0:3], 0 offset:480
	buffer_load_dword v19, off, s[0:3], 0 offset:288
	s_nop 0
	buffer_load_dword v22, off, s[0:3], 0 offset:292
	buffer_load_dword v23, off, s[0:3], 0 offset:296
	;; [unrolled: 1-line block ×14, first 2 shown]
	s_waitcnt vmcnt(41)
	ds_bpermute_b32 v5, v79, v5
	buffer_store_dword v37, off, s[0:3], 0 offset:428
	buffer_load_dword v37, off, s[0:3], 0 offset:320
	s_nop 0
	buffer_load_dword v41, off, s[0:3], 0 offset:324
	buffer_load_dword v42, off, s[0:3], 0 offset:328
	;; [unrolled: 1-line block ×4, first 2 shown]
	s_waitcnt vmcnt(46)
	ds_bpermute_b32 v6, v79, v6
	buffer_store_dword v16, off, s[0:3], 0 offset:440
	buffer_load_dword v16, off, s[0:3], 0 offset:336
	s_nop 0
	buffer_load_dword v45, off, s[0:3], 0 offset:340
	buffer_load_dword v46, off, s[0:3], 0 offset:344
	;; [unrolled: 1-line block ×3, first 2 shown]
	s_nop 0
	buffer_store_dword v10, off, s[0:3], 0 offset:460
	buffer_store_dword v9, off, s[0:3], 0 offset:448
	v_mov_b32_dpp v9, v11 quad_perm:[3,0,1,2] row_mask:0xf bank_mask:0xf
	buffer_store_dword v9, off, s[0:3], 0 offset:468
	buffer_load_dword v9, off, s[0:3], 0 offset:352
	s_nop 0
	buffer_load_dword v10, off, s[0:3], 0 offset:356
	buffer_load_dword v11, off, s[0:3], 0 offset:360
	;; [unrolled: 1-line block ×11, first 2 shown]
	s_waitcnt vmcnt(56)
	ds_bpermute_b32 v0, v80, v0
	buffer_store_dword v21, off, s[0:3], 0 offset:476
	v_mov_b32_dpp v21, v53 quad_perm:[3,0,1,2] row_mask:0xf bank_mask:0xf
	buffer_load_dword v53, off, s[0:3], 0 offset:384
	buffer_load_dword v59, off, s[0:3], 0 offset:388
	;; [unrolled: 1-line block ×4, first 2 shown]
	s_nop 0
	buffer_store_dword v50, off, s[0:3], 0 offset:488
	buffer_store_dword v21, off, s[0:3], 0 offset:484
	;; [unrolled: 1-line block ×4, first 2 shown]
	buffer_load_dword v12, off, s[0:3], 0 offset:476
	s_nop 0
	buffer_load_dword v14, off, s[0:3], 0 offset:484
	buffer_load_dword v21, off, s[0:3], 0 offset:496
	;; [unrolled: 1-line block ×4, first 2 shown]
	s_waitcnt vmcnt(62)
	ds_bpermute_b32 v1, v79, v1
	v_mov_b32_dpp v2, v2 quad_perm:[3,0,1,2] row_mask:0xf bank_mask:0xf
	buffer_store_dword v2, off, s[0:3], 0 offset:492
	s_nop 0
	v_mov_b32_dpp v2, v13 quad_perm:[3,0,1,2] row_mask:0xf bank_mask:0xf
	buffer_store_dword v2, off, s[0:3], 0 offset:500
	buffer_load_dword v2, off, s[0:3], 0 offset:492
	s_nop 0
	buffer_load_dword v13, off, s[0:3], 0 offset:500
	v_mov_b32_dpp v15, v15 quad_perm:[3,0,1,2] row_mask:0xf bank_mask:0xf
	buffer_store_dword v15, off, s[0:3], 0 offset:508
	buffer_load_dword v15, off, s[0:3], 0 offset:508
	s_nop 0
	buffer_store_dword v62, off, s[0:3], 0 offset:268
	buffer_store_dword v8, off, s[0:3], 0 offset:264
	buffer_store_dword v25, off, s[0:3], 0 offset:260
	s_waitcnt vmcnt(62)
	ds_bpermute_b32 v8, v71, v18
	ds_bpermute_b32 v3, v71, v3
	;; [unrolled: 1-line block ×4, first 2 shown]
	buffer_store_dword v61, off, s[0:3], 0 offset:256
	s_waitcnt lgkmcnt(3)
	buffer_store_dword v8, off, s[0:3], 0 offset:284
	s_waitcnt lgkmcnt(1)
	;; [unrolled: 2-line block ×3, first 2 shown]
	buffer_store_dword v7, off, s[0:3], 0 offset:276
	s_waitcnt vmcnt(62)
	ds_bpermute_b32 v7, v72, v24
	buffer_store_dword v3, off, s[0:3], 0 offset:272
	ds_bpermute_b32 v3, v72, v19
	ds_bpermute_b32 v8, v72, v23
	ds_bpermute_b32 v17, v72, v22
	s_waitcnt lgkmcnt(3)
	buffer_store_dword v7, off, s[0:3], 0 offset:300
	s_waitcnt lgkmcnt(1)
	buffer_store_dword v8, off, s[0:3], 0 offset:296
	s_waitcnt lgkmcnt(0)
	buffer_store_dword v17, off, s[0:3], 0 offset:292
	s_waitcnt vmcnt(62)
	ds_bpermute_b32 v7, v73, v31
	buffer_store_dword v3, off, s[0:3], 0 offset:288
	ds_bpermute_b32 v3, v73, v26
	ds_bpermute_b32 v8, v73, v30
	ds_bpermute_b32 v17, v73, v27
	s_waitcnt lgkmcnt(3)
	buffer_store_dword v7, off, s[0:3], 0 offset:316
	s_waitcnt lgkmcnt(1)
	buffer_store_dword v8, off, s[0:3], 0 offset:312
	s_waitcnt lgkmcnt(0)
	buffer_store_dword v17, off, s[0:3], 0 offset:308
	s_waitcnt vmcnt(56)
	ds_bpermute_b32 v7, v74, v43
	buffer_store_dword v3, off, s[0:3], 0 offset:304
	ds_bpermute_b32 v3, v74, v37
	ds_bpermute_b32 v8, v74, v42
	ds_bpermute_b32 v17, v74, v41
	s_waitcnt lgkmcnt(3)
	buffer_store_dword v7, off, s[0:3], 0 offset:332
	s_waitcnt lgkmcnt(1)
	buffer_store_dword v8, off, s[0:3], 0 offset:328
	s_waitcnt lgkmcnt(0)
	buffer_store_dword v17, off, s[0:3], 0 offset:324
	s_waitcnt vmcnt(54)
	ds_bpermute_b32 v7, v75, v47
	buffer_store_dword v3, off, s[0:3], 0 offset:320
	ds_bpermute_b32 v3, v75, v16
	ds_bpermute_b32 v8, v75, v46
	ds_bpermute_b32 v17, v75, v45
	s_waitcnt lgkmcnt(3)
	buffer_store_dword v7, off, s[0:3], 0 offset:348
	s_waitcnt lgkmcnt(1)
	buffer_store_dword v8, off, s[0:3], 0 offset:344
	s_waitcnt lgkmcnt(0)
	buffer_store_dword v17, off, s[0:3], 0 offset:340
	s_waitcnt vmcnt(51)
	ds_bpermute_b32 v7, v76, v48
	buffer_store_dword v3, off, s[0:3], 0 offset:336
	ds_bpermute_b32 v3, v76, v9
	ds_bpermute_b32 v8, v76, v11
	ds_bpermute_b32 v10, v76, v10
	s_waitcnt lgkmcnt(3)
	buffer_store_dword v7, off, s[0:3], 0 offset:364
	s_waitcnt lgkmcnt(1)
	buffer_store_dword v8, off, s[0:3], 0 offset:360
	s_waitcnt lgkmcnt(0)
	buffer_store_dword v10, off, s[0:3], 0 offset:356
	s_waitcnt vmcnt(47)
	ds_bpermute_b32 v7, v77, v58
	buffer_store_dword v3, off, s[0:3], 0 offset:352
	ds_bpermute_b32 v3, v77, v55
	ds_bpermute_b32 v8, v77, v57
	ds_bpermute_b32 v9, v77, v56
	s_waitcnt lgkmcnt(3)
	buffer_store_dword v7, off, s[0:3], 0 offset:380
	s_waitcnt lgkmcnt(1)
	buffer_store_dword v8, off, s[0:3], 0 offset:376
	s_waitcnt lgkmcnt(0)
	buffer_store_dword v9, off, s[0:3], 0 offset:372
	buffer_store_dword v3, off, s[0:3], 0 offset:368
	s_waitcnt vmcnt(50)
	ds_bpermute_b32 v3, v78, v53
	s_waitcnt vmcnt(49)
	ds_bpermute_b32 v9, v78, v59
	;; [unrolled: 2-line block ×4, first 2 shown]
	s_waitcnt lgkmcnt(0)
	buffer_store_dword v7, off, s[0:3], 0 offset:396
	buffer_store_dword v8, off, s[0:3], 0 offset:392
	;; [unrolled: 1-line block ×4, first 2 shown]
	ds_bpermute_b32 v3, v79, v4
	buffer_store_dword v1, off, s[0:3], 0 offset:412
	buffer_store_dword v6, off, s[0:3], 0 offset:408
	;; [unrolled: 1-line block ×3, first 2 shown]
	ds_bpermute_b32 v1, v80, v44
	ds_bpermute_b32 v4, v80, v40
	s_waitcnt lgkmcnt(2)
	buffer_store_dword v3, off, s[0:3], 0 offset:400
	ds_bpermute_b32 v3, v80, v29
	s_waitcnt lgkmcnt(2)
	buffer_store_dword v1, off, s[0:3], 0 offset:428
	buffer_store_dword v0, off, s[0:3], 0 offset:424
	s_waitcnt lgkmcnt(1)
	buffer_store_dword v4, off, s[0:3], 0 offset:420
	ds_bpermute_b32 v0, v81, v34
	ds_bpermute_b32 v1, v81, v49
	;; [unrolled: 1-line block ×3, first 2 shown]
	s_waitcnt lgkmcnt(3)
	buffer_store_dword v3, off, s[0:3], 0 offset:416
	ds_bpermute_b32 v3, v81, v28
	s_waitcnt lgkmcnt(3)
	buffer_store_dword v0, off, s[0:3], 0 offset:444
	s_waitcnt lgkmcnt(2)
	buffer_store_dword v1, off, s[0:3], 0 offset:440
	;; [unrolled: 2-line block ×3, first 2 shown]
	ds_bpermute_b32 v0, v82, v52
	ds_bpermute_b32 v1, v82, v35
	ds_bpermute_b32 v4, v82, v20
	s_waitcnt lgkmcnt(3)
	buffer_store_dword v3, off, s[0:3], 0 offset:432
	ds_bpermute_b32 v3, v82, v51
	s_waitcnt lgkmcnt(3)
	buffer_store_dword v0, off, s[0:3], 0 offset:460
	s_waitcnt lgkmcnt(2)
	buffer_store_dword v1, off, s[0:3], 0 offset:456
	s_waitcnt lgkmcnt(1)
	buffer_store_dword v4, off, s[0:3], 0 offset:452
	s_waitcnt vmcnt(61)
	ds_bpermute_b32 v0, v83, v12
	ds_bpermute_b32 v1, v83, v38
	ds_bpermute_b32 v4, v83, v54
	s_waitcnt lgkmcnt(3)
	buffer_store_dword v3, off, s[0:3], 0 offset:448
	ds_bpermute_b32 v3, v83, v36
	s_waitcnt lgkmcnt(3)
	buffer_store_dword v0, off, s[0:3], 0 offset:476
	s_waitcnt lgkmcnt(2)
	buffer_store_dword v1, off, s[0:3], 0 offset:472
	s_waitcnt lgkmcnt(1)
	buffer_store_dword v4, off, s[0:3], 0 offset:468
	s_waitcnt vmcnt(58)
	;; [unrolled: 13-line block ×3, first 2 shown]
	ds_bpermute_b32 v0, v85, v15
	ds_bpermute_b32 v1, v85, v50
	;; [unrolled: 1-line block ×4, first 2 shown]
	s_waitcnt lgkmcnt(4)
	buffer_store_dword v3, off, s[0:3], 0 offset:480
	s_waitcnt lgkmcnt(3)
	buffer_store_dword v0, off, s[0:3], 0 offset:508
	s_waitcnt lgkmcnt(2)
	buffer_store_dword v1, off, s[0:3], 0 offset:504
	s_waitcnt lgkmcnt(1)
	buffer_store_dword v2, off, s[0:3], 0 offset:500
	s_waitcnt lgkmcnt(0)
	buffer_store_dword v4, off, s[0:3], 0 offset:496
	buffer_load_dword v0, v87, s[0:3], 0 offen
	buffer_load_dword v1, v87, s[0:3], 0 offen offset:4
	buffer_load_dword v2, v87, s[0:3], 0 offen offset:8
	;; [unrolled: 1-line block ×3, first 2 shown]
	s_nop 0
	buffer_load_dword v4, v88, s[0:3], 0 offen
	buffer_load_dword v5, v88, s[0:3], 0 offen offset:4
	buffer_load_dword v6, v88, s[0:3], 0 offen offset:8
	buffer_load_dword v7, v88, s[0:3], 0 offen offset:12
	buffer_load_dword v8, v89, s[0:3], 0 offen
	buffer_load_dword v9, v89, s[0:3], 0 offen offset:4
	buffer_load_dword v10, v89, s[0:3], 0 offen offset:8
	buffer_load_dword v11, v89, s[0:3], 0 offen offset:12
	;; [unrolled: 4-line block ×15, first 2 shown]
	; wave barrier
	s_waitcnt vmcnt(62)
	ds_bpermute_b32 v48, v85, v0
	ds_bpermute_b32 v49, v85, v1
	s_waitcnt vmcnt(61)
	ds_bpermute_b32 v50, v85, v2
	s_waitcnt vmcnt(60)
	;; [unrolled: 2-line block ×58, first 2 shown]
	ds_bpermute_b32 v19, v71, v129
	s_cbranch_scc0 .LBB121_2
; %bb.3:
	s_waitcnt lgkmcnt(14)
	v_mov_b32_e32 v33, v65
	s_branch .LBB121_5
.LBB121_4:
	v_pk_mov_b32 v[18:19], 0, 0
	v_pk_mov_b32 v[62:63], 0, 0
	v_mov_b32_e32 v49, v65
	v_mov_b32_e32 v45, v65
	;; [unrolled: 1-line block ×13, first 2 shown]
	v_pk_mov_b32 v[60:61], v[64:65], v[64:65] op_sel:[0,1]
	v_pk_mov_b32 v[50:51], 0, 0
	v_pk_mov_b32 v[46:47], 0, 0
	;; [unrolled: 1-line block ×12, first 2 shown]
	v_mov_b32_e32 v53, v65
	v_pk_mov_b32 v[54:55], 0, 0
	v_mov_b32_e32 v25, v65
	v_pk_mov_b32 v[26:27], 0, 0
.LBB121_5:
	s_load_dwordx2 s[4:5], s[4:5], 0x0
	v_lshl_or_b32 v64, s8, 12, v64
	v_mov_b32_e32 v65, 0
	v_lshlrev_b64 v[64:65], 4, v[64:65]
	s_waitcnt lgkmcnt(0)
	v_mov_b32_e32 v66, s5
	v_add_co_u32_e32 v64, vcc, s4, v64
	v_addc_co_u32_e32 v65, vcc, v66, v65, vcc
	s_waitcnt vmcnt(0)
	global_store_dwordx4 v[64:65], v[60:63], off
	global_store_dwordx4 v[64:65], v[48:51], off offset:16
	global_store_dwordx4 v[64:65], v[44:47], off offset:32
	;; [unrolled: 1-line block ×15, first 2 shown]
	s_endpgm
	.section	.rodata,"a",@progbits
	.p2align	6, 0x0
	.amdhsa_kernel _Z20warp_exchange_kernelILj256ELj16ELj64EN6common25BlockedToStripedShuffleOpEnEvPT3_j
		.amdhsa_group_segment_fixed_size 0
		.amdhsa_private_segment_fixed_size 528
		.amdhsa_kernarg_size 12
		.amdhsa_user_sgpr_count 8
		.amdhsa_user_sgpr_private_segment_buffer 1
		.amdhsa_user_sgpr_dispatch_ptr 0
		.amdhsa_user_sgpr_queue_ptr 0
		.amdhsa_user_sgpr_kernarg_segment_ptr 1
		.amdhsa_user_sgpr_dispatch_id 0
		.amdhsa_user_sgpr_flat_scratch_init 1
		.amdhsa_user_sgpr_kernarg_preload_length 0
		.amdhsa_user_sgpr_kernarg_preload_offset 0
		.amdhsa_user_sgpr_private_segment_size 0
		.amdhsa_uses_dynamic_stack 0
		.amdhsa_system_sgpr_private_segment_wavefront_offset 1
		.amdhsa_system_sgpr_workgroup_id_x 1
		.amdhsa_system_sgpr_workgroup_id_y 0
		.amdhsa_system_sgpr_workgroup_id_z 0
		.amdhsa_system_sgpr_workgroup_info 0
		.amdhsa_system_vgpr_workitem_id 0
		.amdhsa_next_free_vgpr 130
		.amdhsa_next_free_sgpr 10
		.amdhsa_accum_offset 132
		.amdhsa_reserve_vcc 1
		.amdhsa_reserve_flat_scratch 0
		.amdhsa_float_round_mode_32 0
		.amdhsa_float_round_mode_16_64 0
		.amdhsa_float_denorm_mode_32 3
		.amdhsa_float_denorm_mode_16_64 3
		.amdhsa_dx10_clamp 1
		.amdhsa_ieee_mode 1
		.amdhsa_fp16_overflow 0
		.amdhsa_tg_split 0
		.amdhsa_exception_fp_ieee_invalid_op 0
		.amdhsa_exception_fp_denorm_src 0
		.amdhsa_exception_fp_ieee_div_zero 0
		.amdhsa_exception_fp_ieee_overflow 0
		.amdhsa_exception_fp_ieee_underflow 0
		.amdhsa_exception_fp_ieee_inexact 0
		.amdhsa_exception_int_div_zero 0
	.end_amdhsa_kernel
	.section	.text._Z20warp_exchange_kernelILj256ELj16ELj64EN6common25BlockedToStripedShuffleOpEnEvPT3_j,"axG",@progbits,_Z20warp_exchange_kernelILj256ELj16ELj64EN6common25BlockedToStripedShuffleOpEnEvPT3_j,comdat
.Lfunc_end121:
	.size	_Z20warp_exchange_kernelILj256ELj16ELj64EN6common25BlockedToStripedShuffleOpEnEvPT3_j, .Lfunc_end121-_Z20warp_exchange_kernelILj256ELj16ELj64EN6common25BlockedToStripedShuffleOpEnEvPT3_j
                                        ; -- End function
	.section	.AMDGPU.csdata,"",@progbits
; Kernel info:
; codeLenInByte = 7488
; NumSgprs: 14
; NumVgprs: 130
; NumAgprs: 0
; TotalNumVgprs: 130
; ScratchSize: 528
; MemoryBound: 0
; FloatMode: 240
; IeeeMode: 1
; LDSByteSize: 0 bytes/workgroup (compile time only)
; SGPRBlocks: 1
; VGPRBlocks: 16
; NumSGPRsForWavesPerEU: 14
; NumVGPRsForWavesPerEU: 130
; AccumOffset: 132
; Occupancy: 3
; WaveLimiterHint : 1
; COMPUTE_PGM_RSRC2:SCRATCH_EN: 1
; COMPUTE_PGM_RSRC2:USER_SGPR: 8
; COMPUTE_PGM_RSRC2:TRAP_HANDLER: 0
; COMPUTE_PGM_RSRC2:TGID_X_EN: 1
; COMPUTE_PGM_RSRC2:TGID_Y_EN: 0
; COMPUTE_PGM_RSRC2:TGID_Z_EN: 0
; COMPUTE_PGM_RSRC2:TIDIG_COMP_CNT: 0
; COMPUTE_PGM_RSRC3_GFX90A:ACCUM_OFFSET: 32
; COMPUTE_PGM_RSRC3_GFX90A:TG_SPLIT: 0
	.section	.text._Z20warp_exchange_kernelILj256ELj1ELj64EN6common25StripedToBlockedShuffleOpEnEvPT3_j,"axG",@progbits,_Z20warp_exchange_kernelILj256ELj1ELj64EN6common25StripedToBlockedShuffleOpEnEvPT3_j,comdat
	.protected	_Z20warp_exchange_kernelILj256ELj1ELj64EN6common25StripedToBlockedShuffleOpEnEvPT3_j ; -- Begin function _Z20warp_exchange_kernelILj256ELj1ELj64EN6common25StripedToBlockedShuffleOpEnEvPT3_j
	.globl	_Z20warp_exchange_kernelILj256ELj1ELj64EN6common25StripedToBlockedShuffleOpEnEvPT3_j
	.p2align	8
	.type	_Z20warp_exchange_kernelILj256ELj1ELj64EN6common25StripedToBlockedShuffleOpEnEvPT3_j,@function
_Z20warp_exchange_kernelILj256ELj1ELj64EN6common25StripedToBlockedShuffleOpEnEvPT3_j: ; @_Z20warp_exchange_kernelILj256ELj1ELj64EN6common25StripedToBlockedShuffleOpEnEvPT3_j
; %bb.0:
	s_load_dword s0, s[4:5], 0x8
	v_mov_b32_e32 v5, 0
	s_waitcnt lgkmcnt(0)
	s_cmp_eq_u32 s0, 0
	s_cbranch_scc1 .LBB122_3
; %bb.1:
	v_mbcnt_lo_u32_b32 v1, -1, 0
	v_mbcnt_hi_u32_b32 v1, -1, v1
	v_lshlrev_b32_e32 v1, 2, v1
	v_mov_b32_e32 v2, v0
	v_mov_b32_e32 v3, 0
	;; [unrolled: 1-line block ×3, first 2 shown]
.LBB122_2:                              ; =>This Inner Loop Header: Depth=1
	s_waitcnt lgkmcnt(3)
	ds_bpermute_b32 v2, v1, v2
	s_waitcnt lgkmcnt(3)
	ds_bpermute_b32 v3, v1, v3
	;; [unrolled: 2-line block ×4, first 2 shown]
	s_add_i32 s0, s0, -1
	s_cmp_lg_u32 s0, 0
	; wave barrier
	s_cbranch_scc1 .LBB122_2
	s_branch .LBB122_4
.LBB122_3:
	v_mov_b32_e32 v2, v0
	v_mov_b32_e32 v3, 0
	;; [unrolled: 1-line block ×3, first 2 shown]
.LBB122_4:
	s_load_dwordx2 s[0:1], s[4:5], 0x0
	v_lshl_or_b32 v0, s6, 8, v0
	v_mov_b32_e32 v1, 0
	v_lshlrev_b64 v[0:1], 4, v[0:1]
	s_waitcnt lgkmcnt(0)
	v_mov_b32_e32 v6, s1
	v_add_co_u32_e32 v0, vcc, s0, v0
	v_addc_co_u32_e32 v1, vcc, v6, v1, vcc
	global_store_dwordx4 v[0:1], v[2:5], off
	s_endpgm
	.section	.rodata,"a",@progbits
	.p2align	6, 0x0
	.amdhsa_kernel _Z20warp_exchange_kernelILj256ELj1ELj64EN6common25StripedToBlockedShuffleOpEnEvPT3_j
		.amdhsa_group_segment_fixed_size 0
		.amdhsa_private_segment_fixed_size 0
		.amdhsa_kernarg_size 12
		.amdhsa_user_sgpr_count 6
		.amdhsa_user_sgpr_private_segment_buffer 1
		.amdhsa_user_sgpr_dispatch_ptr 0
		.amdhsa_user_sgpr_queue_ptr 0
		.amdhsa_user_sgpr_kernarg_segment_ptr 1
		.amdhsa_user_sgpr_dispatch_id 0
		.amdhsa_user_sgpr_flat_scratch_init 0
		.amdhsa_user_sgpr_kernarg_preload_length 0
		.amdhsa_user_sgpr_kernarg_preload_offset 0
		.amdhsa_user_sgpr_private_segment_size 0
		.amdhsa_uses_dynamic_stack 0
		.amdhsa_system_sgpr_private_segment_wavefront_offset 0
		.amdhsa_system_sgpr_workgroup_id_x 1
		.amdhsa_system_sgpr_workgroup_id_y 0
		.amdhsa_system_sgpr_workgroup_id_z 0
		.amdhsa_system_sgpr_workgroup_info 0
		.amdhsa_system_vgpr_workitem_id 0
		.amdhsa_next_free_vgpr 7
		.amdhsa_next_free_sgpr 7
		.amdhsa_accum_offset 8
		.amdhsa_reserve_vcc 1
		.amdhsa_reserve_flat_scratch 0
		.amdhsa_float_round_mode_32 0
		.amdhsa_float_round_mode_16_64 0
		.amdhsa_float_denorm_mode_32 3
		.amdhsa_float_denorm_mode_16_64 3
		.amdhsa_dx10_clamp 1
		.amdhsa_ieee_mode 1
		.amdhsa_fp16_overflow 0
		.amdhsa_tg_split 0
		.amdhsa_exception_fp_ieee_invalid_op 0
		.amdhsa_exception_fp_denorm_src 0
		.amdhsa_exception_fp_ieee_div_zero 0
		.amdhsa_exception_fp_ieee_overflow 0
		.amdhsa_exception_fp_ieee_underflow 0
		.amdhsa_exception_fp_ieee_inexact 0
		.amdhsa_exception_int_div_zero 0
	.end_amdhsa_kernel
	.section	.text._Z20warp_exchange_kernelILj256ELj1ELj64EN6common25StripedToBlockedShuffleOpEnEvPT3_j,"axG",@progbits,_Z20warp_exchange_kernelILj256ELj1ELj64EN6common25StripedToBlockedShuffleOpEnEvPT3_j,comdat
.Lfunc_end122:
	.size	_Z20warp_exchange_kernelILj256ELj1ELj64EN6common25StripedToBlockedShuffleOpEnEvPT3_j, .Lfunc_end122-_Z20warp_exchange_kernelILj256ELj1ELj64EN6common25StripedToBlockedShuffleOpEnEvPT3_j
                                        ; -- End function
	.section	.AMDGPU.csdata,"",@progbits
; Kernel info:
; codeLenInByte = 188
; NumSgprs: 11
; NumVgprs: 7
; NumAgprs: 0
; TotalNumVgprs: 7
; ScratchSize: 0
; MemoryBound: 0
; FloatMode: 240
; IeeeMode: 1
; LDSByteSize: 0 bytes/workgroup (compile time only)
; SGPRBlocks: 1
; VGPRBlocks: 0
; NumSGPRsForWavesPerEU: 11
; NumVGPRsForWavesPerEU: 7
; AccumOffset: 8
; Occupancy: 8
; WaveLimiterHint : 0
; COMPUTE_PGM_RSRC2:SCRATCH_EN: 0
; COMPUTE_PGM_RSRC2:USER_SGPR: 6
; COMPUTE_PGM_RSRC2:TRAP_HANDLER: 0
; COMPUTE_PGM_RSRC2:TGID_X_EN: 1
; COMPUTE_PGM_RSRC2:TGID_Y_EN: 0
; COMPUTE_PGM_RSRC2:TGID_Z_EN: 0
; COMPUTE_PGM_RSRC2:TIDIG_COMP_CNT: 0
; COMPUTE_PGM_RSRC3_GFX90A:ACCUM_OFFSET: 1
; COMPUTE_PGM_RSRC3_GFX90A:TG_SPLIT: 0
	.section	.text._Z20warp_exchange_kernelILj256ELj4ELj64EN6common25StripedToBlockedShuffleOpEnEvPT3_j,"axG",@progbits,_Z20warp_exchange_kernelILj256ELj4ELj64EN6common25StripedToBlockedShuffleOpEnEvPT3_j,comdat
	.protected	_Z20warp_exchange_kernelILj256ELj4ELj64EN6common25StripedToBlockedShuffleOpEnEvPT3_j ; -- Begin function _Z20warp_exchange_kernelILj256ELj4ELj64EN6common25StripedToBlockedShuffleOpEnEvPT3_j
	.globl	_Z20warp_exchange_kernelILj256ELj4ELj64EN6common25StripedToBlockedShuffleOpEnEvPT3_j
	.p2align	8
	.type	_Z20warp_exchange_kernelILj256ELj4ELj64EN6common25StripedToBlockedShuffleOpEnEvPT3_j,@function
_Z20warp_exchange_kernelILj256ELj4ELj64EN6common25StripedToBlockedShuffleOpEnEvPT3_j: ; @_Z20warp_exchange_kernelILj256ELj4ELj64EN6common25StripedToBlockedShuffleOpEnEvPT3_j
; %bb.0:
	s_load_dword s7, s[4:5], 0x8
	v_lshlrev_b32_e32 v16, 2, v0
	v_mov_b32_e32 v17, 0
	v_or_b32_e32 v22, 1, v16
	v_or_b32_e32 v20, 2, v16
	s_waitcnt lgkmcnt(0)
	s_cmp_eq_u32 s7, 0
	v_or_b32_e32 v18, 3, v16
	s_cbranch_scc1 .LBB123_27
; %bb.1:
	v_mbcnt_lo_u32_b32 v0, -1, 0
	v_mbcnt_hi_u32_b32 v0, -1, v0
	v_lshlrev_b32_e32 v1, 2, v0
	v_and_b32_e32 v2, 64, v0
	v_and_or_b32 v1, v1, 60, v2
	v_lshrrev_b32_e32 v2, 4, v0
	v_lshlrev_b32_e32 v26, 2, v1
	v_cmp_gt_u32_e32 vcc, 16, v0
	v_cmp_eq_u32_e64 s[0:1], 1, v2
	v_cmp_eq_u32_e64 s[2:3], 2, v2
	;; [unrolled: 1-line block ×3, first 2 shown]
	v_or_b32_e32 v27, 4, v26
	v_or_b32_e32 v28, 8, v26
	;; [unrolled: 1-line block ×3, first 2 shown]
	v_mov_b32_e32 v30, 0
	v_mov_b32_e32 v31, 0
	;; [unrolled: 1-line block ×12, first 2 shown]
	s_branch .LBB123_3
.LBB123_2:                              ;   in Loop: Header=BB123_3 Depth=1
	s_or_b64 exec, exec, s[10:11]
	s_add_i32 s7, s7, -1
	s_cmp_lg_u32 s7, 0
	s_waitcnt lgkmcnt(3)
	v_mov_b32_e32 v18, v12
	v_mov_b32_e32 v17, v13
	;; [unrolled: 1-line block ×4, first 2 shown]
	s_waitcnt lgkmcnt(1)
	v_mov_b32_e32 v20, v8
	v_mov_b32_e32 v19, v9
	;; [unrolled: 1-line block ×5, first 2 shown]
	s_waitcnt lgkmcnt(0)
	v_mov_b32_e32 v21, v5
	v_mov_b32_e32 v24, v6
	;; [unrolled: 1-line block ×7, first 2 shown]
	; wave barrier
	s_cbranch_scc0 .LBB123_28
.LBB123_3:                              ; =>This Inner Loop Header: Depth=1
	ds_bpermute_b32 v0, v26, v23
	ds_bpermute_b32 v1, v26, v34
	;; [unrolled: 1-line block ×4, first 2 shown]
	s_and_saveexec_b64 s[10:11], vcc
	s_or_b64 exec, exec, s[10:11]
	ds_bpermute_b32 v4, v26, v22
	ds_bpermute_b32 v5, v26, v21
	;; [unrolled: 1-line block ×4, first 2 shown]
	s_and_saveexec_b64 s[10:11], s[0:1]
	s_cbranch_execz .LBB123_5
; %bb.4:                                ;   in Loop: Header=BB123_3 Depth=1
	s_waitcnt lgkmcnt(2)
	v_pk_mov_b32 v[0:1], v[4:5], v[4:5] op_sel:[0,1]
	s_waitcnt lgkmcnt(0)
	v_pk_mov_b32 v[2:3], v[6:7], v[6:7] op_sel:[0,1]
.LBB123_5:                              ;   in Loop: Header=BB123_3 Depth=1
	s_or_b64 exec, exec, s[10:11]
	s_waitcnt lgkmcnt(3)
	ds_bpermute_b32 v4, v26, v20
	s_waitcnt lgkmcnt(3)
	ds_bpermute_b32 v5, v26, v19
	s_waitcnt lgkmcnt(3)
	ds_bpermute_b32 v6, v26, v32
	s_waitcnt lgkmcnt(3)
	ds_bpermute_b32 v7, v26, v33
	s_and_saveexec_b64 s[10:11], s[2:3]
	s_cbranch_execz .LBB123_7
; %bb.6:                                ;   in Loop: Header=BB123_3 Depth=1
	s_waitcnt lgkmcnt(2)
	v_pk_mov_b32 v[0:1], v[4:5], v[4:5] op_sel:[0,1]
	s_waitcnt lgkmcnt(0)
	v_pk_mov_b32 v[2:3], v[6:7], v[6:7] op_sel:[0,1]
.LBB123_7:                              ;   in Loop: Header=BB123_3 Depth=1
	s_or_b64 exec, exec, s[10:11]
	s_waitcnt lgkmcnt(3)
	ds_bpermute_b32 v4, v26, v18
	s_waitcnt lgkmcnt(3)
	ds_bpermute_b32 v5, v26, v17
	s_waitcnt lgkmcnt(3)
	ds_bpermute_b32 v6, v26, v30
	s_waitcnt lgkmcnt(3)
	ds_bpermute_b32 v7, v26, v31
	;; [unrolled: 17-line block ×3, first 2 shown]
	s_and_saveexec_b64 s[10:11], vcc
	s_or_b64 exec, exec, s[10:11]
	ds_bpermute_b32 v8, v27, v22
	ds_bpermute_b32 v9, v27, v21
	ds_bpermute_b32 v10, v27, v24
	ds_bpermute_b32 v11, v27, v25
	s_and_saveexec_b64 s[10:11], s[0:1]
	s_cbranch_execz .LBB123_11
; %bb.10:                               ;   in Loop: Header=BB123_3 Depth=1
	s_waitcnt lgkmcnt(2)
	v_pk_mov_b32 v[4:5], v[8:9], v[8:9] op_sel:[0,1]
	s_waitcnt lgkmcnt(0)
	v_pk_mov_b32 v[6:7], v[10:11], v[10:11] op_sel:[0,1]
.LBB123_11:                             ;   in Loop: Header=BB123_3 Depth=1
	s_or_b64 exec, exec, s[10:11]
	s_waitcnt lgkmcnt(3)
	ds_bpermute_b32 v8, v27, v20
	s_waitcnt lgkmcnt(3)
	ds_bpermute_b32 v9, v27, v19
	s_waitcnt lgkmcnt(3)
	ds_bpermute_b32 v10, v27, v32
	s_waitcnt lgkmcnt(3)
	ds_bpermute_b32 v11, v27, v33
	s_and_saveexec_b64 s[10:11], s[2:3]
	s_cbranch_execz .LBB123_13
; %bb.12:                               ;   in Loop: Header=BB123_3 Depth=1
	s_waitcnt lgkmcnt(2)
	v_pk_mov_b32 v[4:5], v[8:9], v[8:9] op_sel:[0,1]
	s_waitcnt lgkmcnt(0)
	v_pk_mov_b32 v[6:7], v[10:11], v[10:11] op_sel:[0,1]
.LBB123_13:                             ;   in Loop: Header=BB123_3 Depth=1
	s_or_b64 exec, exec, s[10:11]
	s_waitcnt lgkmcnt(3)
	ds_bpermute_b32 v8, v27, v18
	s_waitcnt lgkmcnt(3)
	ds_bpermute_b32 v9, v27, v17
	s_waitcnt lgkmcnt(3)
	ds_bpermute_b32 v10, v27, v30
	s_waitcnt lgkmcnt(3)
	ds_bpermute_b32 v11, v27, v31
	;; [unrolled: 17-line block ×3, first 2 shown]
	s_and_saveexec_b64 s[10:11], vcc
	s_or_b64 exec, exec, s[10:11]
	ds_bpermute_b32 v12, v28, v22
	ds_bpermute_b32 v13, v28, v21
	;; [unrolled: 1-line block ×4, first 2 shown]
	s_and_saveexec_b64 s[10:11], s[0:1]
	s_cbranch_execz .LBB123_17
; %bb.16:                               ;   in Loop: Header=BB123_3 Depth=1
	s_waitcnt lgkmcnt(2)
	v_pk_mov_b32 v[8:9], v[12:13], v[12:13] op_sel:[0,1]
	s_waitcnt lgkmcnt(0)
	v_pk_mov_b32 v[10:11], v[14:15], v[14:15] op_sel:[0,1]
.LBB123_17:                             ;   in Loop: Header=BB123_3 Depth=1
	s_or_b64 exec, exec, s[10:11]
	s_waitcnt lgkmcnt(3)
	ds_bpermute_b32 v12, v28, v20
	s_waitcnt lgkmcnt(3)
	ds_bpermute_b32 v13, v28, v19
	s_waitcnt lgkmcnt(3)
	ds_bpermute_b32 v14, v28, v32
	s_waitcnt lgkmcnt(3)
	ds_bpermute_b32 v15, v28, v33
	s_and_saveexec_b64 s[10:11], s[2:3]
	s_cbranch_execz .LBB123_19
; %bb.18:                               ;   in Loop: Header=BB123_3 Depth=1
	s_waitcnt lgkmcnt(2)
	v_pk_mov_b32 v[8:9], v[12:13], v[12:13] op_sel:[0,1]
	s_waitcnt lgkmcnt(0)
	v_pk_mov_b32 v[10:11], v[14:15], v[14:15] op_sel:[0,1]
.LBB123_19:                             ;   in Loop: Header=BB123_3 Depth=1
	s_or_b64 exec, exec, s[10:11]
	s_waitcnt lgkmcnt(3)
	ds_bpermute_b32 v12, v28, v18
	s_waitcnt lgkmcnt(3)
	ds_bpermute_b32 v13, v28, v17
	s_waitcnt lgkmcnt(3)
	ds_bpermute_b32 v14, v28, v30
	s_waitcnt lgkmcnt(3)
	ds_bpermute_b32 v15, v28, v31
	;; [unrolled: 17-line block ×3, first 2 shown]
	s_and_saveexec_b64 s[10:11], vcc
	s_or_b64 exec, exec, s[10:11]
	ds_bpermute_b32 v22, v29, v22
	ds_bpermute_b32 v23, v29, v21
	;; [unrolled: 1-line block ×4, first 2 shown]
	s_and_saveexec_b64 s[10:11], s[0:1]
	s_cbranch_execz .LBB123_23
; %bb.22:                               ;   in Loop: Header=BB123_3 Depth=1
	s_waitcnt lgkmcnt(2)
	v_pk_mov_b32 v[12:13], v[22:23], v[22:23] op_sel:[0,1]
	s_waitcnt lgkmcnt(0)
	v_pk_mov_b32 v[14:15], v[24:25], v[24:25] op_sel:[0,1]
.LBB123_23:                             ;   in Loop: Header=BB123_3 Depth=1
	s_or_b64 exec, exec, s[10:11]
	ds_bpermute_b32 v20, v29, v20
	ds_bpermute_b32 v21, v29, v19
	s_waitcnt lgkmcnt(5)
	ds_bpermute_b32 v22, v29, v32
	s_waitcnt lgkmcnt(5)
	ds_bpermute_b32 v23, v29, v33
	s_and_saveexec_b64 s[10:11], s[2:3]
	s_cbranch_execz .LBB123_25
; %bb.24:                               ;   in Loop: Header=BB123_3 Depth=1
	s_waitcnt lgkmcnt(2)
	v_pk_mov_b32 v[12:13], v[20:21], v[20:21] op_sel:[0,1]
	s_waitcnt lgkmcnt(0)
	v_pk_mov_b32 v[14:15], v[22:23], v[22:23] op_sel:[0,1]
.LBB123_25:                             ;   in Loop: Header=BB123_3 Depth=1
	s_or_b64 exec, exec, s[10:11]
	ds_bpermute_b32 v18, v29, v18
	ds_bpermute_b32 v19, v29, v17
	s_waitcnt lgkmcnt(5)
	ds_bpermute_b32 v20, v29, v30
	s_waitcnt lgkmcnt(5)
	ds_bpermute_b32 v21, v29, v31
	s_and_saveexec_b64 s[10:11], s[8:9]
	s_cbranch_execz .LBB123_2
; %bb.26:                               ;   in Loop: Header=BB123_3 Depth=1
	s_waitcnt lgkmcnt(2)
	v_pk_mov_b32 v[12:13], v[18:19], v[18:19] op_sel:[0,1]
	s_waitcnt lgkmcnt(0)
	v_pk_mov_b32 v[14:15], v[20:21], v[20:21] op_sel:[0,1]
	s_branch .LBB123_2
.LBB123_27:
	v_pk_mov_b32 v[2:3], 0, 0
	v_mov_b32_e32 v23, v17
	v_mov_b32_e32 v21, v17
	;; [unrolled: 1-line block ×3, first 2 shown]
	v_pk_mov_b32 v[14:15], 0, 0
	v_pk_mov_b32 v[0:1], v[16:17], v[16:17] op_sel:[0,1]
	v_pk_mov_b32 v[4:5], v[22:23], v[22:23] op_sel:[0,1]
	;; [unrolled: 1-line block ×6, first 2 shown]
.LBB123_28:
	s_load_dwordx2 s[0:1], s[4:5], 0x0
	v_lshl_or_b32 v16, s6, 10, v16
	v_mov_b32_e32 v17, 0
	v_lshlrev_b64 v[16:17], 4, v[16:17]
	s_waitcnt lgkmcnt(0)
	v_mov_b32_e32 v18, s1
	v_add_co_u32_e32 v16, vcc, s0, v16
	v_addc_co_u32_e32 v17, vcc, v18, v17, vcc
	global_store_dwordx4 v[16:17], v[0:3], off
	global_store_dwordx4 v[16:17], v[4:7], off offset:16
	global_store_dwordx4 v[16:17], v[8:11], off offset:32
	global_store_dwordx4 v[16:17], v[12:15], off offset:48
	s_endpgm
	.section	.rodata,"a",@progbits
	.p2align	6, 0x0
	.amdhsa_kernel _Z20warp_exchange_kernelILj256ELj4ELj64EN6common25StripedToBlockedShuffleOpEnEvPT3_j
		.amdhsa_group_segment_fixed_size 0
		.amdhsa_private_segment_fixed_size 0
		.amdhsa_kernarg_size 12
		.amdhsa_user_sgpr_count 6
		.amdhsa_user_sgpr_private_segment_buffer 1
		.amdhsa_user_sgpr_dispatch_ptr 0
		.amdhsa_user_sgpr_queue_ptr 0
		.amdhsa_user_sgpr_kernarg_segment_ptr 1
		.amdhsa_user_sgpr_dispatch_id 0
		.amdhsa_user_sgpr_flat_scratch_init 0
		.amdhsa_user_sgpr_kernarg_preload_length 0
		.amdhsa_user_sgpr_kernarg_preload_offset 0
		.amdhsa_user_sgpr_private_segment_size 0
		.amdhsa_uses_dynamic_stack 0
		.amdhsa_system_sgpr_private_segment_wavefront_offset 0
		.amdhsa_system_sgpr_workgroup_id_x 1
		.amdhsa_system_sgpr_workgroup_id_y 0
		.amdhsa_system_sgpr_workgroup_id_z 0
		.amdhsa_system_sgpr_workgroup_info 0
		.amdhsa_system_vgpr_workitem_id 0
		.amdhsa_next_free_vgpr 37
		.amdhsa_next_free_sgpr 12
		.amdhsa_accum_offset 40
		.amdhsa_reserve_vcc 1
		.amdhsa_reserve_flat_scratch 0
		.amdhsa_float_round_mode_32 0
		.amdhsa_float_round_mode_16_64 0
		.amdhsa_float_denorm_mode_32 3
		.amdhsa_float_denorm_mode_16_64 3
		.amdhsa_dx10_clamp 1
		.amdhsa_ieee_mode 1
		.amdhsa_fp16_overflow 0
		.amdhsa_tg_split 0
		.amdhsa_exception_fp_ieee_invalid_op 0
		.amdhsa_exception_fp_denorm_src 0
		.amdhsa_exception_fp_ieee_div_zero 0
		.amdhsa_exception_fp_ieee_overflow 0
		.amdhsa_exception_fp_ieee_underflow 0
		.amdhsa_exception_fp_ieee_inexact 0
		.amdhsa_exception_int_div_zero 0
	.end_amdhsa_kernel
	.section	.text._Z20warp_exchange_kernelILj256ELj4ELj64EN6common25StripedToBlockedShuffleOpEnEvPT3_j,"axG",@progbits,_Z20warp_exchange_kernelILj256ELj4ELj64EN6common25StripedToBlockedShuffleOpEnEvPT3_j,comdat
.Lfunc_end123:
	.size	_Z20warp_exchange_kernelILj256ELj4ELj64EN6common25StripedToBlockedShuffleOpEnEvPT3_j, .Lfunc_end123-_Z20warp_exchange_kernelILj256ELj4ELj64EN6common25StripedToBlockedShuffleOpEnEvPT3_j
                                        ; -- End function
	.section	.AMDGPU.csdata,"",@progbits
; Kernel info:
; codeLenInByte = 1556
; NumSgprs: 16
; NumVgprs: 37
; NumAgprs: 0
; TotalNumVgprs: 37
; ScratchSize: 0
; MemoryBound: 0
; FloatMode: 240
; IeeeMode: 1
; LDSByteSize: 0 bytes/workgroup (compile time only)
; SGPRBlocks: 1
; VGPRBlocks: 4
; NumSGPRsForWavesPerEU: 16
; NumVGPRsForWavesPerEU: 37
; AccumOffset: 40
; Occupancy: 8
; WaveLimiterHint : 0
; COMPUTE_PGM_RSRC2:SCRATCH_EN: 0
; COMPUTE_PGM_RSRC2:USER_SGPR: 6
; COMPUTE_PGM_RSRC2:TRAP_HANDLER: 0
; COMPUTE_PGM_RSRC2:TGID_X_EN: 1
; COMPUTE_PGM_RSRC2:TGID_Y_EN: 0
; COMPUTE_PGM_RSRC2:TGID_Z_EN: 0
; COMPUTE_PGM_RSRC2:TIDIG_COMP_CNT: 0
; COMPUTE_PGM_RSRC3_GFX90A:ACCUM_OFFSET: 9
; COMPUTE_PGM_RSRC3_GFX90A:TG_SPLIT: 0
	.section	.text._Z20warp_exchange_kernelILj256ELj16ELj64EN6common25StripedToBlockedShuffleOpEnEvPT3_j,"axG",@progbits,_Z20warp_exchange_kernelILj256ELj16ELj64EN6common25StripedToBlockedShuffleOpEnEvPT3_j,comdat
	.protected	_Z20warp_exchange_kernelILj256ELj16ELj64EN6common25StripedToBlockedShuffleOpEnEvPT3_j ; -- Begin function _Z20warp_exchange_kernelILj256ELj16ELj64EN6common25StripedToBlockedShuffleOpEnEvPT3_j
	.globl	_Z20warp_exchange_kernelILj256ELj16ELj64EN6common25StripedToBlockedShuffleOpEnEvPT3_j
	.p2align	8
	.type	_Z20warp_exchange_kernelILj256ELj16ELj64EN6common25StripedToBlockedShuffleOpEnEvPT3_j,@function
_Z20warp_exchange_kernelILj256ELj16ELj64EN6common25StripedToBlockedShuffleOpEnEvPT3_j: ; @_Z20warp_exchange_kernelILj256ELj16ELj64EN6common25StripedToBlockedShuffleOpEnEvPT3_j
; %bb.0:
	s_load_dword s6, s[4:5], 0x8
	s_add_u32 s0, s0, s9
	s_addc_u32 s1, s1, 0
	v_lshlrev_b32_e32 v64, 4, v0
	v_or_b32_e32 v56, 1, v64
	v_or_b32_e32 v52, 2, v64
	;; [unrolled: 1-line block ×14, first 2 shown]
	s_waitcnt lgkmcnt(0)
	s_cmp_eq_u32 s6, 0
	v_or_b32_e32 v12, 15, v64
	s_cbranch_scc1 .LBB124_3
; %bb.1:
	v_mbcnt_lo_u32_b32 v1, -1, 0
	v_mbcnt_hi_u32_b32 v1, -1, v1
	v_and_b32_e32 v2, 64, v1
	v_add_u32_e32 v3, 60, v1
	v_and_or_b32 v3, v3, 63, v2
	v_lshlrev_b32_e32 v66, 2, v3
	v_add_u32_e32 v3, 56, v1
	v_and_or_b32 v3, v3, 63, v2
	v_lshlrev_b32_e32 v67, 2, v3
	;; [unrolled: 3-line block ×7, first 2 shown]
	v_lshlrev_b32_e32 v3, 2, v1
	v_xor_b32_e32 v73, 0x80, v3
	v_add_u32_e32 v3, 28, v1
	v_and_or_b32 v3, v3, 63, v2
	v_lshlrev_b32_e32 v74, 2, v3
	v_add_u32_e32 v3, 24, v1
	v_and_or_b32 v3, v3, 63, v2
	v_lshlrev_b32_e32 v75, 2, v3
	;; [unrolled: 3-line block ×7, first 2 shown]
	v_lshrrev_b32_e32 v2, 2, v1
	v_add_u32_e32 v7, -1, v2
	v_mov_b32_e32 v6, 0
	v_and_b32_e32 v7, 15, v7
	v_lshl_add_u32 v82, v7, 4, v6
	v_add_u32_e32 v7, 14, v2
	v_and_b32_e32 v7, 15, v7
	v_lshl_add_u32 v83, v7, 4, v6
	v_add_u32_e32 v7, 13, v2
	;; [unrolled: 3-line block ×5, first 2 shown]
	v_add_u32_e32 v2, 9, v2
	v_bfe_u32 v3, v1, 2, 4
	v_and_b32_e32 v2, 15, v2
	v_lshl_add_u32 v88, v2, 4, v6
	v_xor_b32_e32 v2, 8, v3
	v_lshl_add_u32 v81, v3, 4, v6
	v_add_u32_e32 v3, -1, v2
	v_and_b32_e32 v3, 15, v3
	v_lshl_add_u32 v90, v3, 4, v6
	v_add_u32_e32 v3, 14, v2
	v_and_b32_e32 v3, 15, v3
	v_lshl_add_u32 v91, v3, 4, v6
	v_add_u32_e32 v3, 13, v2
	;; [unrolled: 3-line block ×4, first 2 shown]
	v_and_b32_e32 v3, 15, v3
	v_lshl_add_u32 v89, v2, 4, v6
	v_lshl_add_u32 v94, v3, 4, v6
	v_add_u32_e32 v3, 10, v2
	v_add_u32_e32 v2, 9, v2
	v_and_b32_e32 v2, 15, v2
	v_and_b32_e32 v3, 15, v3
	v_lshl_add_u32 v96, v2, 4, v6
	v_and_b32_e32 v2, 3, v1
	v_add_u32_e32 v1, -1, v1
	v_lshl_add_u32 v95, v3, 4, v6
	v_mov_b32_e32 v3, 0x100
	v_and_b32_e32 v1, 3, v1
	v_lshl_add_u32 v98, v1, 4, v3
	v_xor_b32_e32 v1, 2, v2
	v_lshl_add_u32 v99, v1, 4, v3
	v_add_u32_e32 v1, 3, v1
	v_mov_b32_e32 v13, 0
	v_lshl_add_u32 v97, v2, 4, v3
	v_and_b32_e32 v2, 3, v1
	v_lshlrev_b32_e32 v1, 4, v1
	v_mov_b32_e32 v65, v13
	v_and_b32_e32 v7, 15, v7
	v_lshl_add_u32 v100, v2, 4, v3
	v_or_b32_e32 v2, 64, v1
	v_or_b32_e32 v1, 0xc0, v1
	v_pk_mov_b32 v[14:15], 0, 0
	v_mov_b32_e32 v17, v13
	v_mov_b32_e32 v21, v13
	v_mov_b32_e32 v5, v13
	v_mov_b32_e32 v25, v13
	v_mov_b32_e32 v29, v13
	v_mov_b32_e32 v33, v13
	v_lshl_add_u32 v87, v7, 4, v6
	v_add_u32_e32 v101, 0x100, v2
	v_add_u32_e32 v102, 0x100, v1
	v_pk_mov_b32 v[18:19], 0, 0
	v_pk_mov_b32 v[22:23], 0, 0
	;; [unrolled: 1-line block ×6, first 2 shown]
	v_mov_b32_e32 v9, v13
	v_pk_mov_b32 v[10:11], 0, 0
	v_mov_b32_e32 v37, v13
	v_pk_mov_b32 v[38:39], 0, 0
	v_mov_b32_e32 v41, v13
	v_pk_mov_b32 v[42:43], 0, 0
	v_mov_b32_e32 v45, v13
	v_pk_mov_b32 v[46:47], 0, 0
	v_mov_b32_e32 v1, v13
	v_pk_mov_b32 v[2:3], 0, 0
	v_mov_b32_e32 v49, v13
	v_pk_mov_b32 v[50:51], 0, 0
	v_mov_b32_e32 v53, v13
	v_pk_mov_b32 v[54:55], 0, 0
	v_mov_b32_e32 v57, v13
	v_pk_mov_b32 v[58:59], 0, 0
	v_pk_mov_b32 v[62:63], 0, 0
	v_pk_mov_b32 v[60:61], v[64:65], v[64:65] op_sel:[0,1]
.LBB124_2:                              ; =>This Inner Loop Header: Depth=1
	s_waitcnt vmcnt(22)
	buffer_store_dword v61, off, s[0:3], 0 offset:4
	buffer_store_dword v60, off, s[0:3], 0
	buffer_store_dword v63, off, s[0:3], 0 offset:12
	buffer_store_dword v62, off, s[0:3], 0 offset:8
	;; [unrolled: 1-line block ×30, first 2 shown]
	s_waitcnt vmcnt(51)
	buffer_store_dword v9, off, s[0:3], 0 offset:132
	buffer_store_dword v8, off, s[0:3], 0 offset:128
	;; [unrolled: 1-line block ×16, first 2 shown]
	s_waitcnt vmcnt(62)
	buffer_store_dword v5, off, s[0:3], 0 offset:196
	buffer_store_dword v4, off, s[0:3], 0 offset:192
	;; [unrolled: 1-line block ×16, first 2 shown]
	ds_bpermute_b32 v56, v66, v56
	ds_bpermute_b32 v57, v66, v57
	;; [unrolled: 1-line block ×60, first 2 shown]
	buffer_store_dword v60, v81, s[0:3], 0 offen
	buffer_store_dword v61, v81, s[0:3], 0 offen offset:4
	buffer_store_dword v62, v81, s[0:3], 0 offen offset:8
	buffer_store_dword v63, v81, s[0:3], 0 offen offset:12
	s_waitcnt lgkmcnt(14)
	buffer_store_dword v56, v82, s[0:3], 0 offen
	buffer_store_dword v57, v82, s[0:3], 0 offen offset:4
	buffer_store_dword v58, v82, s[0:3], 0 offen offset:8
	buffer_store_dword v59, v82, s[0:3], 0 offen offset:12
	buffer_store_dword v52, v83, s[0:3], 0 offen
	buffer_store_dword v53, v83, s[0:3], 0 offen offset:4
	buffer_store_dword v54, v83, s[0:3], 0 offen offset:8
	buffer_store_dword v55, v83, s[0:3], 0 offen offset:12
	;; [unrolled: 4-line block ×5, first 2 shown]
	buffer_store_dword v43, v87, s[0:3], 0 offen offset:12
	buffer_store_dword v42, v87, s[0:3], 0 offen offset:8
	buffer_store_dword v41, v87, s[0:3], 0 offen offset:4
	buffer_store_dword v40, v87, s[0:3], 0 offen
	buffer_store_dword v39, v88, s[0:3], 0 offen offset:12
	buffer_store_dword v38, v88, s[0:3], 0 offen offset:8
	buffer_store_dword v37, v88, s[0:3], 0 offen offset:4
	buffer_store_dword v36, v88, s[0:3], 0 offen
	;; [unrolled: 4-line block ×6, first 2 shown]
	s_waitcnt lgkmcnt(12)
	buffer_store_dword v7, v93, s[0:3], 0 offen offset:12
	buffer_store_dword v6, v93, s[0:3], 0 offen offset:8
	buffer_store_dword v5, v93, s[0:3], 0 offen offset:4
	buffer_store_dword v4, v93, s[0:3], 0 offen
	s_waitcnt lgkmcnt(8)
	buffer_store_dword v23, v94, s[0:3], 0 offen offset:12
	buffer_store_dword v22, v94, s[0:3], 0 offen offset:8
	buffer_store_dword v21, v94, s[0:3], 0 offen offset:4
	buffer_store_dword v20, v94, s[0:3], 0 offen
	;; [unrolled: 5-line block ×4, first 2 shown]
	buffer_load_dword v0, off, s[0:3], 0 offset:80
	buffer_load_dword v1, off, s[0:3], 0 offset:84
	;; [unrolled: 1-line block ×12, first 2 shown]
	s_add_i32 s6, s6, -1
	s_cmp_lg_u32 s6, 0
	s_waitcnt vmcnt(11)
	ds_bpermute_b32 v0, v76, v0
	s_waitcnt vmcnt(10)
	ds_bpermute_b32 v1, v76, v1
	;; [unrolled: 2-line block ×4, first 2 shown]
	s_waitcnt lgkmcnt(0)
	buffer_store_dword v3, off, s[0:3], 0 offset:92
	buffer_store_dword v2, off, s[0:3], 0 offset:88
	;; [unrolled: 1-line block ×4, first 2 shown]
	s_waitcnt vmcnt(11)
	ds_bpermute_b32 v1, v72, v4
	buffer_load_dword v0, off, s[0:3], 0 offset:144
	buffer_load_dword v2, off, s[0:3], 0 offset:208
	;; [unrolled: 1-line block ×5, first 2 shown]
	s_waitcnt vmcnt(15)
	ds_bpermute_b32 v4, v72, v5
	s_waitcnt vmcnt(14)
	ds_bpermute_b32 v5, v72, v6
	s_waitcnt lgkmcnt(2)
	buffer_store_dword v1, off, s[0:3], 0 offset:148
	buffer_load_dword v1, off, s[0:3], 0 offset:148
	s_nop 0
	buffer_load_dword v6, off, s[0:3], 0 offset:212
	buffer_load_dword v19, off, s[0:3], 0 offset:216
	;; [unrolled: 1-line block ×7, first 2 shown]
	s_waitcnt lgkmcnt(0)
	buffer_store_dword v5, off, s[0:3], 0 offset:156
	buffer_store_dword v4, off, s[0:3], 0 offset:152
	buffer_load_dword v5, off, s[0:3], 0 offset:152
	s_nop 0
	buffer_load_dword v25, off, s[0:3], 0 offset:156
	buffer_load_dword v26, off, s[0:3], 0 offset:132
	buffer_load_dword v27, off, s[0:3], 0 offset:140
	buffer_load_dword v28, off, s[0:3], 0 offset:64
	buffer_load_dword v29, off, s[0:3], 0 offset:72
	buffer_load_dword v30, off, s[0:3], 0 offset:172
	buffer_load_dword v31, off, s[0:3], 0 offset:164
	buffer_load_dword v32, off, s[0:3], 0 offset:76
	buffer_load_dword v33, off, s[0:3], 0 offset:128
	buffer_load_dword v34, off, s[0:3], 0 offset:68
	s_waitcnt vmcnt(35)
	ds_bpermute_b32 v4, v71, v7
	buffer_load_dword v7, off, s[0:3], 0 offset:100
	buffer_load_dword v35, off, s[0:3], 0 offset:124
	;; [unrolled: 1-line block ×3, first 2 shown]
	s_waitcnt vmcnt(37)
	ds_bpermute_b32 v13, v80, v8
	s_waitcnt vmcnt(36)
	ds_bpermute_b32 v14, v80, v9
	;; [unrolled: 2-line block ×3, first 2 shown]
	s_waitcnt lgkmcnt(3)
	buffer_store_dword v4, off, s[0:3], 0 offset:168
	buffer_load_dword v4, off, s[0:3], 0 offset:168
	s_nop 0
	buffer_load_dword v37, off, s[0:3], 0 offset:176
	buffer_load_dword v38, off, s[0:3], 0 offset:188
	;; [unrolled: 1-line block ×5, first 2 shown]
	s_waitcnt vmcnt(41)
	ds_bpermute_b32 v16, v80, v11
	buffer_load_dword v8, off, s[0:3], 0 offset:96
	buffer_load_dword v9, off, s[0:3], 0 offset:120
	buffer_load_dword v10, off, s[0:3], 0 offset:224
	buffer_load_dword v11, off, s[0:3], 0 offset:228
	buffer_load_dword v42, off, s[0:3], 0 offset:232
	buffer_load_dword v43, off, s[0:3], 0 offset:236
	buffer_load_dword v44, off, s[0:3], 0 offset:240
	s_waitcnt vmcnt(27)
	v_mov_b32_dpp v5, v5 quad_perm:[2,3,0,1] row_mask:0xf bank_mask:0xf
	ds_bpermute_b32 v12, v72, v0
	ds_bpermute_b32 v0, v68, v2
	;; [unrolled: 1-line block ×5, first 2 shown]
	v_mov_b32_dpp v20, v21 quad_perm:[3,0,1,2] row_mask:0xf bank_mask:0xf
	v_mov_b32_dpp v21, v22 quad_perm:[3,0,1,2] row_mask:0xf bank_mask:0xf
	;; [unrolled: 1-line block ×4, first 2 shown]
	s_waitcnt lgkmcnt(4)
	v_mov_b32_dpp v24, v12 quad_perm:[2,3,0,1] row_mask:0xf bank_mask:0xf
	v_mov_b32_dpp v1, v1 quad_perm:[2,3,0,1] row_mask:0xf bank_mask:0xf
	s_waitcnt vmcnt(26)
	v_mov_b32_dpp v25, v25 quad_perm:[2,3,0,1] row_mask:0xf bank_mask:0xf
	s_waitcnt lgkmcnt(0)
	v_mov_b32_dpp v19, v19 quad_perm:[1,2,3,0] row_mask:0xf bank_mask:0xf
	buffer_store_dword v13, v97, s[0:3], 0 offen offset:64
	buffer_store_dword v14, v97, s[0:3], 0 offen offset:68
	buffer_store_dword v15, v97, s[0:3], 0 offen offset:72
	buffer_store_dword v16, v97, s[0:3], 0 offen offset:76
	buffer_store_dword v20, v98, s[0:3], 0 offen offset:64
	buffer_store_dword v21, v98, s[0:3], 0 offen offset:68
	buffer_store_dword v22, v98, s[0:3], 0 offen offset:72
	buffer_store_dword v23, v98, s[0:3], 0 offen offset:76
	buffer_store_dword v24, v99, s[0:3], 0 offen offset:64
	buffer_store_dword v1, v99, s[0:3], 0 offen offset:68
	buffer_store_dword v5, v99, s[0:3], 0 offen offset:72
	buffer_store_dword v25, v99, s[0:3], 0 offen offset:76
	buffer_store_dword v19, v101, s[0:3], 0 offen offset:12
	s_waitcnt vmcnt(37)
	ds_bpermute_b32 v20, v73, v27
	ds_bpermute_b32 v5, v73, v26
	v_mov_b32_dpp v0, v0 quad_perm:[1,2,3,0] row_mask:0xf bank_mask:0xf
	buffer_load_dword v19, off, s[0:3], 0 offset:380
	v_mov_b32_dpp v1, v2 quad_perm:[1,2,3,0] row_mask:0xf bank_mask:0xf
	v_mov_b32_dpp v2, v6 quad_perm:[1,2,3,0] row_mask:0xf bank_mask:0xf
	buffer_store_dword v0, v101, s[0:3], 0 offen
	buffer_store_dword v1, v101, s[0:3], 0 offen offset:4
	buffer_store_dword v2, v101, s[0:3], 0 offen offset:8
	buffer_load_dword v0, off, s[0:3], 0 offset:320
	s_nop 0
	buffer_load_dword v1, off, s[0:3], 0 offset:324
	s_waitcnt vmcnt(42)
	ds_bpermute_b32 v2, v77, v28
	buffer_load_dword v21, off, s[0:3], 0 offset:116
	s_waitcnt lgkmcnt(2)
	buffer_store_dword v20, off, s[0:3], 0 offset:140
	s_waitcnt lgkmcnt(1)
	buffer_store_dword v5, off, s[0:3], 0 offset:132
	s_waitcnt vmcnt(43)
	ds_bpermute_b32 v20, v71, v30
	s_waitcnt vmcnt(42)
	ds_bpermute_b32 v24, v71, v31
	buffer_load_dword v5, off, s[0:3], 0 offset:180
	buffer_load_dword v22, off, s[0:3], 0 offset:132
	;; [unrolled: 1-line block ×3, first 2 shown]
	s_waitcnt vmcnt(44)
	ds_bpermute_b32 v25, v77, v32
	s_waitcnt lgkmcnt(3)
	buffer_store_dword v2, off, s[0:3], 0 offset:64
	s_waitcnt lgkmcnt(2)
	buffer_store_dword v20, off, s[0:3], 0 offset:172
	;; [unrolled: 2-line block ×3, first 2 shown]
	buffer_load_dword v20, off, s[0:3], 0 offset:164
	s_nop 0
	buffer_load_dword v24, off, s[0:3], 0 offset:172
	buffer_load_dword v26, off, s[0:3], 0 offset:184
	;; [unrolled: 1-line block ×3, first 2 shown]
	ds_bpermute_b32 v6, v77, v29
	s_waitcnt vmcnt(50)
	ds_bpermute_b32 v2, v73, v33
	s_waitcnt vmcnt(49)
	ds_bpermute_b32 v28, v77, v34
	s_waitcnt lgkmcnt(3)
	buffer_store_dword v25, off, s[0:3], 0 offset:76
	s_waitcnt lgkmcnt(2)
	buffer_store_dword v6, off, s[0:3], 0 offset:72
	s_waitcnt lgkmcnt(1)
	buffer_store_dword v2, off, s[0:3], 0 offset:128
	s_waitcnt vmcnt(49)
	ds_bpermute_b32 v2, v73, v36
	buffer_load_dword v6, off, s[0:3], 0 offset:128
	buffer_load_dword v25, off, s[0:3], 0 offset:196
	;; [unrolled: 1-line block ×3, first 2 shown]
	ds_bpermute_b32 v17, v75, v17
	s_waitcnt lgkmcnt(2)
	buffer_store_dword v28, off, s[0:3], 0 offset:68
	s_waitcnt vmcnt(49)
	ds_bpermute_b32 v28, v70, v38
	s_waitcnt lgkmcnt(2)
	buffer_store_dword v2, off, s[0:3], 0 offset:136
	ds_bpermute_b32 v2, v75, v3
	ds_bpermute_b32 v3, v75, v7
	buffer_load_dword v30, off, s[0:3], 0 offset:68
	buffer_load_dword v31, off, s[0:3], 0 offset:72
	;; [unrolled: 1-line block ×3, first 2 shown]
	v_mov_b32_dpp v4, v4 quad_perm:[2,3,0,1] row_mask:0xf bank_mask:0xf
	s_waitcnt lgkmcnt(2)
	buffer_store_dword v28, off, s[0:3], 0 offset:188
	buffer_load_dword v28, off, s[0:3], 0 offset:188
	s_nop 0
	buffer_load_dword v33, off, s[0:3], 0 offset:136
	buffer_load_dword v34, off, s[0:3], 0
	buffer_load_dword v36, off, s[0:3], 0 offset:4
	buffer_load_dword v38, off, s[0:3], 0 offset:8
	;; [unrolled: 1-line block ×10, first 2 shown]
	s_waitcnt lgkmcnt(1)
	buffer_store_dword v2, off, s[0:3], 0 offset:104
	s_waitcnt lgkmcnt(0)
	buffer_store_dword v3, off, s[0:3], 0 offset:100
	s_waitcnt vmcnt(62)
	ds_bpermute_b32 v2, v75, v8
	ds_bpermute_b32 v3, v74, v18
	buffer_load_dword v51, off, s[0:3], 0 offset:100
	buffer_load_dword v52, off, s[0:3], 0 offset:104
	;; [unrolled: 1-line block ×6, first 2 shown]
	ds_bpermute_b32 v37, v70, v37
	s_waitcnt lgkmcnt(2)
	buffer_store_dword v2, off, s[0:3], 0 offset:96
	ds_bpermute_b32 v2, v74, v9
	s_waitcnt lgkmcnt(2)
	buffer_store_dword v3, off, s[0:3], 0 offset:112
	buffer_load_dword v9, off, s[0:3], 0 offset:244
	buffer_load_dword v54, off, s[0:3], 0 offset:248
	;; [unrolled: 1-line block ×5, first 2 shown]
	s_waitcnt vmcnt(52)
	ds_bpermute_b32 v3, v74, v21
	s_waitcnt lgkmcnt(1)
	buffer_store_dword v2, off, s[0:3], 0 offset:120
	ds_bpermute_b32 v2, v74, v35
	buffer_load_dword v21, off, s[0:3], 0 offset:96
	buffer_load_dword v57, off, s[0:3], 0 offset:120
	s_waitcnt vmcnt(51)
	v_mov_b32_dpp v22, v22 quad_perm:[2,3,0,1] row_mask:0xf bank_mask:0xf
	buffer_store_dword v17, off, s[0:3], 0 offset:108
	buffer_load_dword v17, off, s[0:3], 0 offset:108
	s_waitcnt vmcnt(52)
	v_mov_b32_dpp v23, v23 quad_perm:[2,3,0,1] row_mask:0xf bank_mask:0xf
	s_waitcnt vmcnt(46)
	ds_bpermute_b32 v26, v70, v26
	s_waitcnt lgkmcnt(2)
	buffer_store_dword v3, off, s[0:3], 0 offset:116
	buffer_load_dword v35, off, s[0:3], 0 offset:116
	s_waitcnt vmcnt(47)
	v_mov_b32_dpp v27, v27 quad_perm:[3,0,1,2] row_mask:0xf bank_mask:0xf
	s_waitcnt lgkmcnt(1)
	buffer_store_dword v2, off, s[0:3], 0 offset:124
	buffer_load_dword v58, off, s[0:3], 0 offset:124
	buffer_load_dword v105, off, s[0:3], 0 offset:336
	;; [unrolled: 1-line block ×7, first 2 shown]
	v_mov_b32_dpp v20, v20 quad_perm:[2,3,0,1] row_mask:0xf bank_mask:0xf
	s_waitcnt lgkmcnt(0)
	buffer_store_dword v26, off, s[0:3], 0 offset:184
	ds_bpermute_b32 v26, v69, v39
	ds_bpermute_b32 v39, v69, v40
	buffer_load_dword v40, off, s[0:3], 0 offset:184
	s_waitcnt vmcnt(52)
	ds_bpermute_b32 v25, v69, v25
	s_waitcnt vmcnt(51)
	ds_bpermute_b32 v29, v69, v29
	v_mov_b32_dpp v6, v6 quad_perm:[2,3,0,1] row_mask:0xf bank_mask:0xf
	s_waitcnt vmcnt(48)
	v_mov_b32_dpp v30, v30 quad_perm:[3,0,1,2] row_mask:0xf bank_mask:0xf
	s_waitcnt vmcnt(47)
	;; [unrolled: 2-line block ×4, first 2 shown]
	v_mov_b32_dpp v33, v33 quad_perm:[2,3,0,1] row_mask:0xf bank_mask:0xf
	s_waitcnt lgkmcnt(3)
	v_mov_b32_dpp v26, v26 quad_perm:[1,2,3,0] row_mask:0xf bank_mask:0xf
	s_waitcnt lgkmcnt(1)
	v_mov_b32_dpp v25, v25 quad_perm:[1,2,3,0] row_mask:0xf bank_mask:0xf
	v_mov_b32_dpp v39, v39 quad_perm:[1,2,3,0] row_mask:0xf bank_mask:0xf
	s_waitcnt lgkmcnt(0)
	v_mov_b32_dpp v29, v29 quad_perm:[1,2,3,0] row_mask:0xf bank_mask:0xf
	s_waitcnt vmcnt(42)
	buffer_store_dword v34, v97, s[0:3], 0 offen
	s_waitcnt vmcnt(42)
	buffer_store_dword v36, v97, s[0:3], 0 offen offset:4
	s_waitcnt vmcnt(42)
	buffer_store_dword v38, v97, s[0:3], 0 offen offset:8
	buffer_store_dword v41, v97, s[0:3], 0 offen offset:12
	buffer_store_dword v27, v98, s[0:3], 0 offen
	buffer_store_dword v30, v98, s[0:3], 0 offen offset:4
	buffer_store_dword v31, v98, s[0:3], 0 offen offset:8
	buffer_store_dword v32, v98, s[0:3], 0 offen offset:12
	buffer_store_dword v6, v99, s[0:3], 0 offen
	buffer_store_dword v22, v99, s[0:3], 0 offen offset:4
	buffer_store_dword v33, v99, s[0:3], 0 offen offset:8
	buffer_store_dword v23, v99, s[0:3], 0 offen offset:12
	buffer_store_dword v26, v100, s[0:3], 0 offen
	buffer_store_dword v25, v100, s[0:3], 0 offen offset:4
	buffer_store_dword v39, v100, s[0:3], 0 offen offset:8
	buffer_store_dword v29, v100, s[0:3], 0 offen offset:12
	s_waitcnt vmcnt(53)
	ds_bpermute_b32 v27, v79, v46
	s_waitcnt vmcnt(50)
	ds_bpermute_b32 v31, v79, v7
	;; [unrolled: 2-line block ×3, first 2 shown]
	ds_bpermute_b32 v45, v71, v45
	ds_bpermute_b32 v6, v67, v11
	;; [unrolled: 1-line block ×8, first 2 shown]
	buffer_load_dword v22, off, s[0:3], 0 offset:300
	buffer_load_dword v23, off, s[0:3], 0 offset:296
	;; [unrolled: 1-line block ×8, first 2 shown]
	ds_bpermute_b32 v47, v70, v5
	ds_bpermute_b32 v5, v67, v10
	;; [unrolled: 1-line block ×3, first 2 shown]
	buffer_load_dword v43, off, s[0:3], 0 offset:356
	buffer_load_dword v109, off, s[0:3], 0 offset:364
	;; [unrolled: 1-line block ×3, first 2 shown]
	v_mov_b32_dpp v44, v51 quad_perm:[3,0,1,2] row_mask:0xf bank_mask:0xf
	v_mov_b32_dpp v48, v52 quad_perm:[3,0,1,2] row_mask:0xf bank_mask:0xf
	s_waitcnt lgkmcnt(10)
	v_mov_b32_dpp v52, v45 quad_perm:[2,3,0,1] row_mask:0xf bank_mask:0xf
	v_mov_b32_dpp v24, v24 quad_perm:[2,3,0,1] row_mask:0xf bank_mask:0xf
	s_waitcnt lgkmcnt(9)
	v_mov_b32_dpp v6, v6 quad_perm:[1,2,3,0] row_mask:0xf bank_mask:0xf
	s_waitcnt lgkmcnt(8)
	;; [unrolled: 2-line block ×3, first 2 shown]
	v_mov_b32_dpp v8, v8 quad_perm:[1,2,3,0] row_mask:0xf bank_mask:0xf
	s_waitcnt vmcnt(48)
	ds_bpermute_b32 v9, v66, v9
	s_waitcnt vmcnt(47)
	ds_bpermute_b32 v11, v66, v54
	;; [unrolled: 2-line block ×3, first 2 shown]
	ds_bpermute_b32 v46, v78, v53
	s_waitcnt vmcnt(45)
	v_mov_b32_dpp v49, v56 quad_perm:[3,0,1,2] row_mask:0xf bank_mask:0xf
	v_mov_b32_dpp v53, v37 quad_perm:[2,3,0,1] row_mask:0xf bank_mask:0xf
	s_waitcnt lgkmcnt(6)
	v_mov_b32_dpp v54, v47 quad_perm:[2,3,0,1] row_mask:0xf bank_mask:0xf
	s_waitcnt lgkmcnt(5)
	v_mov_b32_dpp v5, v5 quad_perm:[1,2,3,0] row_mask:0xf bank_mask:0xf
	s_waitcnt vmcnt(42)
	v_mov_b32_dpp v21, v21 quad_perm:[3,0,1,2] row_mask:0xf bank_mask:0xf
	s_waitcnt vmcnt(41)
	v_mov_b32_dpp v50, v57 quad_perm:[3,0,1,2] row_mask:0xf bank_mask:0xf
	s_waitcnt vmcnt(39)
	v_mov_b32_dpp v17, v17 quad_perm:[3,0,1,2] row_mask:0xf bank_mask:0xf
	buffer_store_dword v27, v97, s[0:3], 0 offen offset:128
	buffer_store_dword v29, v97, s[0:3], 0 offen offset:132
	;; [unrolled: 1-line block ×15, first 2 shown]
	buffer_load_dword v17, off, s[0:3], 0 offset:440
	buffer_load_dword v20, off, s[0:3], 0 offset:436
	s_nop 0
	buffer_store_dword v38, v97, s[0:3], 0 offen offset:192
	buffer_store_dword v39, v97, s[0:3], 0 offen offset:196
	v_mov_b32_dpp v6, v28 quad_perm:[2,3,0,1] row_mask:0xf bank_mask:0xf
	s_waitcnt vmcnt(56)
	v_mov_b32_dpp v35, v35 quad_perm:[3,0,1,2] row_mask:0xf bank_mask:0xf
	s_waitcnt vmcnt(54)
	v_mov_b32_dpp v51, v58 quad_perm:[3,0,1,2] row_mask:0xf bank_mask:0xf
	s_waitcnt lgkmcnt(4)
	v_mov_b32_dpp v7, v10 quad_perm:[1,2,3,0] row_mask:0xf bank_mask:0xf
	s_waitcnt lgkmcnt(3)
	;; [unrolled: 2-line block ×4, first 2 shown]
	v_mov_b32_dpp v10, v42 quad_perm:[1,2,3,0] row_mask:0xf bank_mask:0xf
	s_waitcnt vmcnt(53)
	v_mov_b32_dpp v44, v105 quad_perm:[1,2,3,0] row_mask:0xf bank_mask:0xf
	s_waitcnt vmcnt(46)
	v_mov_b32_dpp v4, v40 quad_perm:[2,3,0,1] row_mask:0xf bank_mask:0xf
	buffer_load_dword v21, off, s[0:3], 0 offset:272
	buffer_load_dword v24, off, s[0:3], 0 offset:276
	;; [unrolled: 1-line block ×4, first 2 shown]
	s_nop 0
	buffer_store_dword v41, v97, s[0:3], 0 offen offset:200
	s_waitcnt lgkmcnt(0)
	buffer_store_dword v46, v97, s[0:3], 0 offen offset:204
	buffer_store_dword v49, v98, s[0:3], 0 offen offset:192
	;; [unrolled: 1-line block ×10, first 2 shown]
	buffer_store_dword v7, v102, s[0:3], 0 offen
	buffer_store_dword v8, v102, s[0:3], 0 offen offset:4
	buffer_store_dword v9, v102, s[0:3], 0 offen offset:8
	;; [unrolled: 1-line block ×3, first 2 shown]
	buffer_load_dword v111, off, s[0:3], 0 offset:416
	buffer_load_dword v112, off, s[0:3], 0 offset:420
	;; [unrolled: 1-line block ×34, first 2 shown]
	s_nop 0
	buffer_store_dword v16, off, s[0:3], 0 offset:28
	buffer_store_dword v15, off, s[0:3], 0 offset:24
	;; [unrolled: 1-line block ×16, first 2 shown]
	v_mov_b32_dpp v45, v108 quad_perm:[1,2,3,0] row_mask:0xf bank_mask:0xf
	v_mov_b32_dpp v46, v103 quad_perm:[1,2,3,0] row_mask:0xf bank_mask:0xf
	;; [unrolled: 1-line block ×6, first 2 shown]
	; wave barrier
	s_waitcnt vmcnt(62)
	v_mov_b32_dpp v55, v22 quad_perm:[2,3,0,1] row_mask:0xf bank_mask:0xf
	v_mov_b32_dpp v54, v23 quad_perm:[2,3,0,1] row_mask:0xf bank_mask:0xf
	;; [unrolled: 1-line block ×12, first 2 shown]
	s_waitcnt vmcnt(48)
	v_mov_b32_dpp v29, v112 quad_perm:[2,3,0,1] row_mask:0xf bank_mask:0xf
	s_waitcnt vmcnt(47)
	v_mov_b32_dpp v30, v113 quad_perm:[2,3,0,1] row_mask:0xf bank_mask:0xf
	;; [unrolled: 2-line block ×13, first 2 shown]
	v_mov_b32_dpp v26, v17 quad_perm:[3,0,1,2] row_mask:0xf bank_mask:0xf
	v_mov_b32_dpp v25, v20 quad_perm:[3,0,1,2] row_mask:0xf bank_mask:0xf
	;; [unrolled: 1-line block ×3, first 2 shown]
	s_waitcnt vmcnt(29)
	v_mov_b32_dpp v23, v130 quad_perm:[1,2,3,0] row_mask:0xf bank_mask:0xf
	v_mov_b32_dpp v16, v129 quad_perm:[2,3,0,1] row_mask:0xf bank_mask:0xf
	;; [unrolled: 1-line block ×4, first 2 shown]
	s_waitcnt vmcnt(25)
	v_mov_b32_dpp v15, v131 quad_perm:[3,0,1,2] row_mask:0xf bank_mask:0xf
	v_mov_b32_dpp v56, v21 quad_perm:[1,2,3,0] row_mask:0xf bank_mask:0xf
	;; [unrolled: 1-line block ×9, first 2 shown]
	s_cbranch_scc1 .LBB124_2
	s_branch .LBB124_4
.LBB124_3:
	v_mov_b32_e32 v65, 0
	v_pk_mov_b32 v[14:15], 0, 0
	v_pk_mov_b32 v[62:63], 0, 0
	v_mov_b32_e32 v57, v65
	v_mov_b32_e32 v53, v65
	v_mov_b32_e32 v49, v65
	v_mov_b32_e32 v1, v65
	v_mov_b32_e32 v45, v65
	v_mov_b32_e32 v41, v65
	v_mov_b32_e32 v37, v65
	v_mov_b32_e32 v9, v65
	v_mov_b32_e32 v33, v65
	v_mov_b32_e32 v29, v65
	v_mov_b32_e32 v25, v65
	v_mov_b32_e32 v5, v65
	v_mov_b32_e32 v13, v65
	v_pk_mov_b32 v[60:61], v[64:65], v[64:65] op_sel:[0,1]
	v_pk_mov_b32 v[58:59], 0, 0
	v_pk_mov_b32 v[54:55], 0, 0
	;; [unrolled: 1-line block ×12, first 2 shown]
	v_mov_b32_e32 v21, v65
	v_pk_mov_b32 v[22:23], 0, 0
	v_mov_b32_e32 v17, v65
	v_pk_mov_b32 v[18:19], 0, 0
.LBB124_4:
	s_load_dwordx2 s[4:5], s[4:5], 0x0
	v_lshl_or_b32 v64, s8, 12, v64
	v_mov_b32_e32 v65, 0
	v_lshlrev_b64 v[64:65], 4, v[64:65]
	s_waitcnt lgkmcnt(0)
	v_mov_b32_e32 v66, s5
	v_add_co_u32_e32 v64, vcc, s4, v64
	v_addc_co_u32_e32 v65, vcc, v66, v65, vcc
	s_waitcnt vmcnt(22)
	global_store_dwordx4 v[64:65], v[60:63], off
	global_store_dwordx4 v[64:65], v[56:59], off offset:16
	global_store_dwordx4 v[64:65], v[52:55], off offset:32
	;; [unrolled: 1-line block ×7, first 2 shown]
	s_waitcnt vmcnt(27)
	global_store_dwordx4 v[64:65], v[8:11], off offset:128
	global_store_dwordx4 v[64:65], v[32:35], off offset:144
	;; [unrolled: 1-line block ×4, first 2 shown]
	s_waitcnt vmcnt(28)
	global_store_dwordx4 v[64:65], v[4:7], off offset:192
	global_store_dwordx4 v[64:65], v[20:23], off offset:208
	;; [unrolled: 1-line block ×4, first 2 shown]
	s_endpgm
	.section	.rodata,"a",@progbits
	.p2align	6, 0x0
	.amdhsa_kernel _Z20warp_exchange_kernelILj256ELj16ELj64EN6common25StripedToBlockedShuffleOpEnEvPT3_j
		.amdhsa_group_segment_fixed_size 0
		.amdhsa_private_segment_fixed_size 528
		.amdhsa_kernarg_size 12
		.amdhsa_user_sgpr_count 8
		.amdhsa_user_sgpr_private_segment_buffer 1
		.amdhsa_user_sgpr_dispatch_ptr 0
		.amdhsa_user_sgpr_queue_ptr 0
		.amdhsa_user_sgpr_kernarg_segment_ptr 1
		.amdhsa_user_sgpr_dispatch_id 0
		.amdhsa_user_sgpr_flat_scratch_init 1
		.amdhsa_user_sgpr_kernarg_preload_length 0
		.amdhsa_user_sgpr_kernarg_preload_offset 0
		.amdhsa_user_sgpr_private_segment_size 0
		.amdhsa_uses_dynamic_stack 0
		.amdhsa_system_sgpr_private_segment_wavefront_offset 1
		.amdhsa_system_sgpr_workgroup_id_x 1
		.amdhsa_system_sgpr_workgroup_id_y 0
		.amdhsa_system_sgpr_workgroup_id_z 0
		.amdhsa_system_sgpr_workgroup_info 0
		.amdhsa_system_vgpr_workitem_id 0
		.amdhsa_next_free_vgpr 132
		.amdhsa_next_free_sgpr 10
		.amdhsa_accum_offset 132
		.amdhsa_reserve_vcc 1
		.amdhsa_reserve_flat_scratch 0
		.amdhsa_float_round_mode_32 0
		.amdhsa_float_round_mode_16_64 0
		.amdhsa_float_denorm_mode_32 3
		.amdhsa_float_denorm_mode_16_64 3
		.amdhsa_dx10_clamp 1
		.amdhsa_ieee_mode 1
		.amdhsa_fp16_overflow 0
		.amdhsa_tg_split 0
		.amdhsa_exception_fp_ieee_invalid_op 0
		.amdhsa_exception_fp_denorm_src 0
		.amdhsa_exception_fp_ieee_div_zero 0
		.amdhsa_exception_fp_ieee_overflow 0
		.amdhsa_exception_fp_ieee_underflow 0
		.amdhsa_exception_fp_ieee_inexact 0
		.amdhsa_exception_int_div_zero 0
	.end_amdhsa_kernel
	.section	.text._Z20warp_exchange_kernelILj256ELj16ELj64EN6common25StripedToBlockedShuffleOpEnEvPT3_j,"axG",@progbits,_Z20warp_exchange_kernelILj256ELj16ELj64EN6common25StripedToBlockedShuffleOpEnEvPT3_j,comdat
.Lfunc_end124:
	.size	_Z20warp_exchange_kernelILj256ELj16ELj64EN6common25StripedToBlockedShuffleOpEnEvPT3_j, .Lfunc_end124-_Z20warp_exchange_kernelILj256ELj16ELj64EN6common25StripedToBlockedShuffleOpEnEvPT3_j
                                        ; -- End function
	.section	.AMDGPU.csdata,"",@progbits
; Kernel info:
; codeLenInByte = 6668
; NumSgprs: 14
; NumVgprs: 132
; NumAgprs: 0
; TotalNumVgprs: 132
; ScratchSize: 528
; MemoryBound: 0
; FloatMode: 240
; IeeeMode: 1
; LDSByteSize: 0 bytes/workgroup (compile time only)
; SGPRBlocks: 1
; VGPRBlocks: 16
; NumSGPRsForWavesPerEU: 14
; NumVGPRsForWavesPerEU: 132
; AccumOffset: 132
; Occupancy: 3
; WaveLimiterHint : 1
; COMPUTE_PGM_RSRC2:SCRATCH_EN: 1
; COMPUTE_PGM_RSRC2:USER_SGPR: 8
; COMPUTE_PGM_RSRC2:TRAP_HANDLER: 0
; COMPUTE_PGM_RSRC2:TGID_X_EN: 1
; COMPUTE_PGM_RSRC2:TGID_Y_EN: 0
; COMPUTE_PGM_RSRC2:TGID_Z_EN: 0
; COMPUTE_PGM_RSRC2:TIDIG_COMP_CNT: 0
; COMPUTE_PGM_RSRC3_GFX90A:ACCUM_OFFSET: 32
; COMPUTE_PGM_RSRC3_GFX90A:TG_SPLIT: 0
	.section	.text._Z20warp_exchange_kernelILj256ELj1ELj64E18ScatterToStripedOpnEvPT3_j,"axG",@progbits,_Z20warp_exchange_kernelILj256ELj1ELj64E18ScatterToStripedOpnEvPT3_j,comdat
	.protected	_Z20warp_exchange_kernelILj256ELj1ELj64E18ScatterToStripedOpnEvPT3_j ; -- Begin function _Z20warp_exchange_kernelILj256ELj1ELj64E18ScatterToStripedOpnEvPT3_j
	.globl	_Z20warp_exchange_kernelILj256ELj1ELj64E18ScatterToStripedOpnEvPT3_j
	.p2align	8
	.type	_Z20warp_exchange_kernelILj256ELj1ELj64E18ScatterToStripedOpnEvPT3_j,@function
_Z20warp_exchange_kernelILj256ELj1ELj64E18ScatterToStripedOpnEvPT3_j: ; @_Z20warp_exchange_kernelILj256ELj1ELj64E18ScatterToStripedOpnEvPT3_j
; %bb.0:
	s_load_dword s0, s[4:5], 0x8
	v_mov_b32_e32 v1, 0
	s_waitcnt lgkmcnt(0)
	s_cmp_eq_u32 s0, 0
	s_cbranch_scc1 .LBB125_3
; %bb.1:
	v_not_b32_e32 v2, v0
	v_lshlrev_b32_e32 v3, 4, v0
	v_mbcnt_lo_u32_b32 v6, -1, 0
	v_and_b32_e32 v2, 63, v2
	v_and_b32_e32 v3, 0xc00, v3
	v_mbcnt_hi_u32_b32 v7, -1, v6
	v_pk_mov_b32 v[4:5], 0, 0
	v_lshl_or_b32 v6, v2, 4, v3
	v_lshl_add_u32 v7, v7, 4, v3
	v_pk_mov_b32 v[2:3], v[0:1], v[0:1] op_sel:[0,1]
.LBB125_2:                              ; =>This Inner Loop Header: Depth=1
	s_waitcnt lgkmcnt(0)
	ds_write_b128 v6, v[2:5]
	; wave barrier
	ds_read_b128 v[2:5], v7
	s_add_i32 s0, s0, -1
	s_cmp_lg_u32 s0, 0
	; wave barrier
	s_cbranch_scc1 .LBB125_2
	s_branch .LBB125_4
.LBB125_3:
	v_pk_mov_b32 v[4:5], 0, 0
	v_pk_mov_b32 v[2:3], v[0:1], v[0:1] op_sel:[0,1]
.LBB125_4:
	s_load_dwordx2 s[0:1], s[4:5], 0x0
	v_lshl_or_b32 v0, s6, 8, v0
	v_mov_b32_e32 v1, 0
	v_lshlrev_b64 v[0:1], 4, v[0:1]
	s_waitcnt lgkmcnt(0)
	v_mov_b32_e32 v6, s1
	v_add_co_u32_e32 v0, vcc, s0, v0
	v_addc_co_u32_e32 v1, vcc, v6, v1, vcc
	global_store_dwordx4 v[0:1], v[2:5], off
	s_endpgm
	.section	.rodata,"a",@progbits
	.p2align	6, 0x0
	.amdhsa_kernel _Z20warp_exchange_kernelILj256ELj1ELj64E18ScatterToStripedOpnEvPT3_j
		.amdhsa_group_segment_fixed_size 4096
		.amdhsa_private_segment_fixed_size 0
		.amdhsa_kernarg_size 12
		.amdhsa_user_sgpr_count 6
		.amdhsa_user_sgpr_private_segment_buffer 1
		.amdhsa_user_sgpr_dispatch_ptr 0
		.amdhsa_user_sgpr_queue_ptr 0
		.amdhsa_user_sgpr_kernarg_segment_ptr 1
		.amdhsa_user_sgpr_dispatch_id 0
		.amdhsa_user_sgpr_flat_scratch_init 0
		.amdhsa_user_sgpr_kernarg_preload_length 0
		.amdhsa_user_sgpr_kernarg_preload_offset 0
		.amdhsa_user_sgpr_private_segment_size 0
		.amdhsa_uses_dynamic_stack 0
		.amdhsa_system_sgpr_private_segment_wavefront_offset 0
		.amdhsa_system_sgpr_workgroup_id_x 1
		.amdhsa_system_sgpr_workgroup_id_y 0
		.amdhsa_system_sgpr_workgroup_id_z 0
		.amdhsa_system_sgpr_workgroup_info 0
		.amdhsa_system_vgpr_workitem_id 0
		.amdhsa_next_free_vgpr 8
		.amdhsa_next_free_sgpr 7
		.amdhsa_accum_offset 8
		.amdhsa_reserve_vcc 1
		.amdhsa_reserve_flat_scratch 0
		.amdhsa_float_round_mode_32 0
		.amdhsa_float_round_mode_16_64 0
		.amdhsa_float_denorm_mode_32 3
		.amdhsa_float_denorm_mode_16_64 3
		.amdhsa_dx10_clamp 1
		.amdhsa_ieee_mode 1
		.amdhsa_fp16_overflow 0
		.amdhsa_tg_split 0
		.amdhsa_exception_fp_ieee_invalid_op 0
		.amdhsa_exception_fp_denorm_src 0
		.amdhsa_exception_fp_ieee_div_zero 0
		.amdhsa_exception_fp_ieee_overflow 0
		.amdhsa_exception_fp_ieee_underflow 0
		.amdhsa_exception_fp_ieee_inexact 0
		.amdhsa_exception_int_div_zero 0
	.end_amdhsa_kernel
	.section	.text._Z20warp_exchange_kernelILj256ELj1ELj64E18ScatterToStripedOpnEvPT3_j,"axG",@progbits,_Z20warp_exchange_kernelILj256ELj1ELj64E18ScatterToStripedOpnEvPT3_j,comdat
.Lfunc_end125:
	.size	_Z20warp_exchange_kernelILj256ELj1ELj64E18ScatterToStripedOpnEvPT3_j, .Lfunc_end125-_Z20warp_exchange_kernelILj256ELj1ELj64E18ScatterToStripedOpnEvPT3_j
                                        ; -- End function
	.section	.AMDGPU.csdata,"",@progbits
; Kernel info:
; codeLenInByte = 200
; NumSgprs: 11
; NumVgprs: 8
; NumAgprs: 0
; TotalNumVgprs: 8
; ScratchSize: 0
; MemoryBound: 0
; FloatMode: 240
; IeeeMode: 1
; LDSByteSize: 4096 bytes/workgroup (compile time only)
; SGPRBlocks: 1
; VGPRBlocks: 0
; NumSGPRsForWavesPerEU: 11
; NumVGPRsForWavesPerEU: 8
; AccumOffset: 8
; Occupancy: 8
; WaveLimiterHint : 0
; COMPUTE_PGM_RSRC2:SCRATCH_EN: 0
; COMPUTE_PGM_RSRC2:USER_SGPR: 6
; COMPUTE_PGM_RSRC2:TRAP_HANDLER: 0
; COMPUTE_PGM_RSRC2:TGID_X_EN: 1
; COMPUTE_PGM_RSRC2:TGID_Y_EN: 0
; COMPUTE_PGM_RSRC2:TGID_Z_EN: 0
; COMPUTE_PGM_RSRC2:TIDIG_COMP_CNT: 0
; COMPUTE_PGM_RSRC3_GFX90A:ACCUM_OFFSET: 1
; COMPUTE_PGM_RSRC3_GFX90A:TG_SPLIT: 0
	.section	.text._Z20warp_exchange_kernelILj256ELj4ELj64E18ScatterToStripedOpnEvPT3_j,"axG",@progbits,_Z20warp_exchange_kernelILj256ELj4ELj64E18ScatterToStripedOpnEvPT3_j,comdat
	.protected	_Z20warp_exchange_kernelILj256ELj4ELj64E18ScatterToStripedOpnEvPT3_j ; -- Begin function _Z20warp_exchange_kernelILj256ELj4ELj64E18ScatterToStripedOpnEvPT3_j
	.globl	_Z20warp_exchange_kernelILj256ELj4ELj64E18ScatterToStripedOpnEvPT3_j
	.p2align	8
	.type	_Z20warp_exchange_kernelILj256ELj4ELj64E18ScatterToStripedOpnEvPT3_j,@function
_Z20warp_exchange_kernelILj256ELj4ELj64E18ScatterToStripedOpnEvPT3_j: ; @_Z20warp_exchange_kernelILj256ELj4ELj64E18ScatterToStripedOpnEvPT3_j
; %bb.0:
	s_load_dword s0, s[4:5], 0x8
	v_lshlrev_b32_e32 v18, 2, v0
	v_or_b32_e32 v10, 1, v18
	v_or_b32_e32 v6, 2, v18
	;; [unrolled: 1-line block ×3, first 2 shown]
	s_waitcnt lgkmcnt(0)
	s_cmp_eq_u32 s0, 0
	s_cbranch_scc1 .LBB126_3
; %bb.1:
	v_and_b32_e32 v1, 0xfc, v18
	v_lshlrev_b32_e32 v0, 6, v0
	v_mov_b32_e32 v3, 0
	v_xor_b32_e32 v8, 0xfc, v1
	v_and_b32_e32 v9, 0x3000, v0
	v_mbcnt_lo_u32_b32 v12, -1, 0
	v_pk_mov_b32 v[4:5], 0, 0
	v_mov_b32_e32 v19, v3
	v_lshl_or_b32 v0, v8, 4, v9
	v_mbcnt_hi_u32_b32 v8, -1, v12
	v_pk_mov_b32 v[16:17], 0, 0
	v_mov_b32_e32 v7, v3
	v_mov_b32_e32 v11, v3
	v_lshl_or_b32 v1, v1, 4, v9
	v_lshl_or_b32 v20, v8, 4, v9
	v_pk_mov_b32 v[8:9], v[4:5], v[4:5] op_sel:[0,1]
	v_pk_mov_b32 v[12:13], v[4:5], v[4:5] op_sel:[0,1]
	;; [unrolled: 1-line block ×3, first 2 shown]
.LBB126_2:                              ; =>This Inner Loop Header: Depth=1
	s_waitcnt lgkmcnt(3)
	ds_write_b128 v0, v[14:17]
	s_waitcnt lgkmcnt(3)
	ds_write_b128 v1, v[10:13] offset:16
	s_waitcnt lgkmcnt(3)
	ds_write_b128 v0, v[6:9] offset:32
	;; [unrolled: 2-line block ×3, first 2 shown]
	; wave barrier
	ds_read_b128 v[14:17], v20
	ds_read_b128 v[10:13], v20 offset:1024
	ds_read_b128 v[6:9], v20 offset:2048
	;; [unrolled: 1-line block ×3, first 2 shown]
	s_add_i32 s0, s0, -1
	s_cmp_lg_u32 s0, 0
	; wave barrier
	s_cbranch_scc1 .LBB126_2
	s_branch .LBB126_4
.LBB126_3:
	v_mov_b32_e32 v19, 0
	v_pk_mov_b32 v[16:17], 0, 0
	v_pk_mov_b32 v[4:5], 0, 0
	v_mov_b32_e32 v11, v19
	v_mov_b32_e32 v7, v19
	;; [unrolled: 1-line block ×3, first 2 shown]
	v_pk_mov_b32 v[14:15], v[18:19], v[18:19] op_sel:[0,1]
	v_pk_mov_b32 v[12:13], v[16:17], v[16:17] op_sel:[0,1]
	;; [unrolled: 1-line block ×3, first 2 shown]
.LBB126_4:
	s_load_dwordx2 s[0:1], s[4:5], 0x0
	v_lshl_or_b32 v0, s6, 10, v18
	v_mov_b32_e32 v1, 0
	v_lshlrev_b64 v[0:1], 4, v[0:1]
	s_waitcnt lgkmcnt(0)
	v_mov_b32_e32 v18, s1
	v_add_co_u32_e32 v0, vcc, s0, v0
	v_addc_co_u32_e32 v1, vcc, v18, v1, vcc
	global_store_dwordx4 v[0:1], v[14:17], off
	global_store_dwordx4 v[0:1], v[10:13], off offset:16
	global_store_dwordx4 v[0:1], v[6:9], off offset:32
	;; [unrolled: 1-line block ×3, first 2 shown]
	s_endpgm
	.section	.rodata,"a",@progbits
	.p2align	6, 0x0
	.amdhsa_kernel _Z20warp_exchange_kernelILj256ELj4ELj64E18ScatterToStripedOpnEvPT3_j
		.amdhsa_group_segment_fixed_size 16384
		.amdhsa_private_segment_fixed_size 0
		.amdhsa_kernarg_size 12
		.amdhsa_user_sgpr_count 6
		.amdhsa_user_sgpr_private_segment_buffer 1
		.amdhsa_user_sgpr_dispatch_ptr 0
		.amdhsa_user_sgpr_queue_ptr 0
		.amdhsa_user_sgpr_kernarg_segment_ptr 1
		.amdhsa_user_sgpr_dispatch_id 0
		.amdhsa_user_sgpr_flat_scratch_init 0
		.amdhsa_user_sgpr_kernarg_preload_length 0
		.amdhsa_user_sgpr_kernarg_preload_offset 0
		.amdhsa_user_sgpr_private_segment_size 0
		.amdhsa_uses_dynamic_stack 0
		.amdhsa_system_sgpr_private_segment_wavefront_offset 0
		.amdhsa_system_sgpr_workgroup_id_x 1
		.amdhsa_system_sgpr_workgroup_id_y 0
		.amdhsa_system_sgpr_workgroup_id_z 0
		.amdhsa_system_sgpr_workgroup_info 0
		.amdhsa_system_vgpr_workitem_id 0
		.amdhsa_next_free_vgpr 21
		.amdhsa_next_free_sgpr 7
		.amdhsa_accum_offset 24
		.amdhsa_reserve_vcc 1
		.amdhsa_reserve_flat_scratch 0
		.amdhsa_float_round_mode_32 0
		.amdhsa_float_round_mode_16_64 0
		.amdhsa_float_denorm_mode_32 3
		.amdhsa_float_denorm_mode_16_64 3
		.amdhsa_dx10_clamp 1
		.amdhsa_ieee_mode 1
		.amdhsa_fp16_overflow 0
		.amdhsa_tg_split 0
		.amdhsa_exception_fp_ieee_invalid_op 0
		.amdhsa_exception_fp_denorm_src 0
		.amdhsa_exception_fp_ieee_div_zero 0
		.amdhsa_exception_fp_ieee_overflow 0
		.amdhsa_exception_fp_ieee_underflow 0
		.amdhsa_exception_fp_ieee_inexact 0
		.amdhsa_exception_int_div_zero 0
	.end_amdhsa_kernel
	.section	.text._Z20warp_exchange_kernelILj256ELj4ELj64E18ScatterToStripedOpnEvPT3_j,"axG",@progbits,_Z20warp_exchange_kernelILj256ELj4ELj64E18ScatterToStripedOpnEvPT3_j,comdat
.Lfunc_end126:
	.size	_Z20warp_exchange_kernelILj256ELj4ELj64E18ScatterToStripedOpnEvPT3_j, .Lfunc_end126-_Z20warp_exchange_kernelILj256ELj4ELj64E18ScatterToStripedOpnEvPT3_j
                                        ; -- End function
	.section	.AMDGPU.csdata,"",@progbits
; Kernel info:
; codeLenInByte = 392
; NumSgprs: 11
; NumVgprs: 21
; NumAgprs: 0
; TotalNumVgprs: 21
; ScratchSize: 0
; MemoryBound: 0
; FloatMode: 240
; IeeeMode: 1
; LDSByteSize: 16384 bytes/workgroup (compile time only)
; SGPRBlocks: 1
; VGPRBlocks: 2
; NumSGPRsForWavesPerEU: 11
; NumVGPRsForWavesPerEU: 21
; AccumOffset: 24
; Occupancy: 4
; WaveLimiterHint : 0
; COMPUTE_PGM_RSRC2:SCRATCH_EN: 0
; COMPUTE_PGM_RSRC2:USER_SGPR: 6
; COMPUTE_PGM_RSRC2:TRAP_HANDLER: 0
; COMPUTE_PGM_RSRC2:TGID_X_EN: 1
; COMPUTE_PGM_RSRC2:TGID_Y_EN: 0
; COMPUTE_PGM_RSRC2:TGID_Z_EN: 0
; COMPUTE_PGM_RSRC2:TIDIG_COMP_CNT: 0
; COMPUTE_PGM_RSRC3_GFX90A:ACCUM_OFFSET: 5
; COMPUTE_PGM_RSRC3_GFX90A:TG_SPLIT: 0
	.section	.text._Z20warp_exchange_kernelILj256ELj16ELj64E18ScatterToStripedOpnEvPT3_j,"axG",@progbits,_Z20warp_exchange_kernelILj256ELj16ELj64E18ScatterToStripedOpnEvPT3_j,comdat
	.protected	_Z20warp_exchange_kernelILj256ELj16ELj64E18ScatterToStripedOpnEvPT3_j ; -- Begin function _Z20warp_exchange_kernelILj256ELj16ELj64E18ScatterToStripedOpnEvPT3_j
	.globl	_Z20warp_exchange_kernelILj256ELj16ELj64E18ScatterToStripedOpnEvPT3_j
	.p2align	8
	.type	_Z20warp_exchange_kernelILj256ELj16ELj64E18ScatterToStripedOpnEvPT3_j,@function
_Z20warp_exchange_kernelILj256ELj16ELj64E18ScatterToStripedOpnEvPT3_j: ; @_Z20warp_exchange_kernelILj256ELj16ELj64E18ScatterToStripedOpnEvPT3_j
; %bb.0:
	s_load_dword s0, s[4:5], 0x8
	v_lshlrev_b32_e32 v66, 4, v0
	v_or_b32_e32 v58, 1, v66
	v_or_b32_e32 v54, 2, v66
	;; [unrolled: 1-line block ×14, first 2 shown]
	s_waitcnt lgkmcnt(0)
	s_cmp_eq_u32 s0, 0
	v_or_b32_e32 v2, 15, v66
	s_cbranch_scc1 .LBB127_3
; %bb.1:
	v_lshlrev_b32_e32 v0, 8, v0
	v_mov_b32_e32 v3, 0
	v_and_b32_e32 v4, 0x3f0, v66
	v_and_b32_e32 v5, 0xc000, v0
	v_mbcnt_lo_u32_b32 v0, -1, 0
	v_pk_mov_b32 v[60:61], 0, 0
	v_mov_b32_e32 v67, v3
	v_xor_b32_e32 v1, 0x3f0, v4
	v_mbcnt_hi_u32_b32 v0, -1, v0
	v_pk_mov_b32 v[64:65], 0, 0
	v_mov_b32_e32 v7, v3
	v_mov_b32_e32 v11, v3
	;; [unrolled: 1-line block ×14, first 2 shown]
	v_lshl_or_b32 v0, v0, 4, v5
	v_lshl_or_b32 v1, v1, 4, v5
	v_lshl_or_b32 v68, v4, 4, v5
	v_pk_mov_b32 v[62:63], v[66:67], v[66:67] op_sel:[0,1]
	v_pk_mov_b32 v[56:57], v[60:61], v[60:61] op_sel:[0,1]
	;; [unrolled: 1-line block ×15, first 2 shown]
.LBB127_2:                              ; =>This Inner Loop Header: Depth=1
	s_waitcnt lgkmcnt(14)
	ds_write_b128 v1, v[62:65]
	ds_write_b128 v68, v[58:61] offset:16
	s_waitcnt lgkmcnt(14)
	ds_write_b128 v1, v[54:57] offset:32
	ds_write_b128 v68, v[50:53] offset:48
	s_waitcnt lgkmcnt(14)
	ds_write_b128 v1, v[46:49] offset:64
	;; [unrolled: 3-line block ×7, first 2 shown]
	ds_write_b128 v68, v[2:5] offset:240
	; wave barrier
	ds_read_b128 v[62:65], v0
	ds_read_b128 v[58:61], v0 offset:1024
	ds_read_b128 v[54:57], v0 offset:2048
	;; [unrolled: 1-line block ×15, first 2 shown]
	s_add_i32 s0, s0, -1
	s_cmp_lg_u32 s0, 0
	; wave barrier
	s_cbranch_scc1 .LBB127_2
	s_branch .LBB127_4
.LBB127_3:
	v_mov_b32_e32 v67, 0
	v_pk_mov_b32 v[8:9], 0, 0
	v_pk_mov_b32 v[4:5], 0, 0
	v_mov_b32_e32 v59, v67
	v_mov_b32_e32 v55, v67
	;; [unrolled: 1-line block ×15, first 2 shown]
	v_pk_mov_b32 v[12:13], v[8:9], v[8:9] op_sel:[0,1]
	v_pk_mov_b32 v[16:17], v[8:9], v[8:9] op_sel:[0,1]
	;; [unrolled: 1-line block ×15, first 2 shown]
.LBB127_4:
	s_load_dwordx2 s[0:1], s[4:5], 0x0
	v_lshl_or_b32 v0, s6, 12, v66
	v_mov_b32_e32 v1, 0
	v_lshlrev_b64 v[0:1], 4, v[0:1]
	s_waitcnt lgkmcnt(0)
	v_mov_b32_e32 v66, s1
	v_add_co_u32_e32 v0, vcc, s0, v0
	v_addc_co_u32_e32 v1, vcc, v66, v1, vcc
	global_store_dwordx4 v[0:1], v[62:65], off
	global_store_dwordx4 v[0:1], v[58:61], off offset:16
	global_store_dwordx4 v[0:1], v[54:57], off offset:32
	;; [unrolled: 1-line block ×15, first 2 shown]
	s_endpgm
	.section	.rodata,"a",@progbits
	.p2align	6, 0x0
	.amdhsa_kernel _Z20warp_exchange_kernelILj256ELj16ELj64E18ScatterToStripedOpnEvPT3_j
		.amdhsa_group_segment_fixed_size 65536
		.amdhsa_private_segment_fixed_size 0
		.amdhsa_kernarg_size 12
		.amdhsa_user_sgpr_count 6
		.amdhsa_user_sgpr_private_segment_buffer 1
		.amdhsa_user_sgpr_dispatch_ptr 0
		.amdhsa_user_sgpr_queue_ptr 0
		.amdhsa_user_sgpr_kernarg_segment_ptr 1
		.amdhsa_user_sgpr_dispatch_id 0
		.amdhsa_user_sgpr_flat_scratch_init 0
		.amdhsa_user_sgpr_kernarg_preload_length 0
		.amdhsa_user_sgpr_kernarg_preload_offset 0
		.amdhsa_user_sgpr_private_segment_size 0
		.amdhsa_uses_dynamic_stack 0
		.amdhsa_system_sgpr_private_segment_wavefront_offset 0
		.amdhsa_system_sgpr_workgroup_id_x 1
		.amdhsa_system_sgpr_workgroup_id_y 0
		.amdhsa_system_sgpr_workgroup_id_z 0
		.amdhsa_system_sgpr_workgroup_info 0
		.amdhsa_system_vgpr_workitem_id 0
		.amdhsa_next_free_vgpr 69
		.amdhsa_next_free_sgpr 7
		.amdhsa_accum_offset 72
		.amdhsa_reserve_vcc 1
		.amdhsa_reserve_flat_scratch 0
		.amdhsa_float_round_mode_32 0
		.amdhsa_float_round_mode_16_64 0
		.amdhsa_float_denorm_mode_32 3
		.amdhsa_float_denorm_mode_16_64 3
		.amdhsa_dx10_clamp 1
		.amdhsa_ieee_mode 1
		.amdhsa_fp16_overflow 0
		.amdhsa_tg_split 0
		.amdhsa_exception_fp_ieee_invalid_op 0
		.amdhsa_exception_fp_denorm_src 0
		.amdhsa_exception_fp_ieee_div_zero 0
		.amdhsa_exception_fp_ieee_overflow 0
		.amdhsa_exception_fp_ieee_underflow 0
		.amdhsa_exception_fp_ieee_inexact 0
		.amdhsa_exception_int_div_zero 0
	.end_amdhsa_kernel
	.section	.text._Z20warp_exchange_kernelILj256ELj16ELj64E18ScatterToStripedOpnEvPT3_j,"axG",@progbits,_Z20warp_exchange_kernelILj256ELj16ELj64E18ScatterToStripedOpnEvPT3_j,comdat
.Lfunc_end127:
	.size	_Z20warp_exchange_kernelILj256ELj16ELj64E18ScatterToStripedOpnEvPT3_j, .Lfunc_end127-_Z20warp_exchange_kernelILj256ELj16ELj64E18ScatterToStripedOpnEvPT3_j
                                        ; -- End function
	.section	.AMDGPU.csdata,"",@progbits
; Kernel info:
; codeLenInByte = 1032
; NumSgprs: 11
; NumVgprs: 69
; NumAgprs: 0
; TotalNumVgprs: 69
; ScratchSize: 0
; MemoryBound: 1
; FloatMode: 240
; IeeeMode: 1
; LDSByteSize: 65536 bytes/workgroup (compile time only)
; SGPRBlocks: 1
; VGPRBlocks: 8
; NumSGPRsForWavesPerEU: 11
; NumVGPRsForWavesPerEU: 69
; AccumOffset: 72
; Occupancy: 1
; WaveLimiterHint : 1
; COMPUTE_PGM_RSRC2:SCRATCH_EN: 0
; COMPUTE_PGM_RSRC2:USER_SGPR: 6
; COMPUTE_PGM_RSRC2:TRAP_HANDLER: 0
; COMPUTE_PGM_RSRC2:TGID_X_EN: 1
; COMPUTE_PGM_RSRC2:TGID_Y_EN: 0
; COMPUTE_PGM_RSRC2:TGID_Z_EN: 0
; COMPUTE_PGM_RSRC2:TIDIG_COMP_CNT: 0
; COMPUTE_PGM_RSRC3_GFX90A:ACCUM_OFFSET: 17
; COMPUTE_PGM_RSRC3_GFX90A:TG_SPLIT: 0
	.section	.text._Z20warp_exchange_kernelILj256ELj1ELj64EN6common18BlockedToStripedOpEoEvPT3_j,"axG",@progbits,_Z20warp_exchange_kernelILj256ELj1ELj64EN6common18BlockedToStripedOpEoEvPT3_j,comdat
	.protected	_Z20warp_exchange_kernelILj256ELj1ELj64EN6common18BlockedToStripedOpEoEvPT3_j ; -- Begin function _Z20warp_exchange_kernelILj256ELj1ELj64EN6common18BlockedToStripedOpEoEvPT3_j
	.globl	_Z20warp_exchange_kernelILj256ELj1ELj64EN6common18BlockedToStripedOpEoEvPT3_j
	.p2align	8
	.type	_Z20warp_exchange_kernelILj256ELj1ELj64EN6common18BlockedToStripedOpEoEvPT3_j,@function
_Z20warp_exchange_kernelILj256ELj1ELj64EN6common18BlockedToStripedOpEoEvPT3_j: ; @_Z20warp_exchange_kernelILj256ELj1ELj64EN6common18BlockedToStripedOpEoEvPT3_j
; %bb.0:
	s_load_dword s0, s[4:5], 0x8
	v_mov_b32_e32 v1, 0
	v_pk_mov_b32 v[4:5], 0, 0
	s_waitcnt lgkmcnt(0)
	s_cmp_eq_u32 s0, 0
	s_cbranch_scc1 .LBB128_3
; %bb.1:
	v_lshlrev_b32_e32 v2, 4, v0
	v_mbcnt_lo_u32_b32 v3, -1, 0
	v_and_b32_e32 v2, 0xc00, v2
	v_mbcnt_hi_u32_b32 v3, -1, v3
	v_lshl_add_u32 v6, v3, 4, v2
	v_pk_mov_b32 v[2:3], v[0:1], v[0:1] op_sel:[0,1]
.LBB128_2:                              ; =>This Inner Loop Header: Depth=1
	s_waitcnt lgkmcnt(0)
	ds_write_b128 v6, v[2:5]
	; wave barrier
	ds_read_b128 v[2:5], v6
	s_add_i32 s0, s0, -1
	s_cmp_lg_u32 s0, 0
	; wave barrier
	s_cbranch_scc1 .LBB128_2
	s_branch .LBB128_4
.LBB128_3:
	v_pk_mov_b32 v[2:3], v[0:1], v[0:1] op_sel:[0,1]
.LBB128_4:
	s_load_dwordx2 s[0:1], s[4:5], 0x0
	v_lshl_or_b32 v0, s6, 8, v0
	v_mov_b32_e32 v1, 0
	v_lshlrev_b64 v[0:1], 4, v[0:1]
	s_waitcnt lgkmcnt(0)
	v_mov_b32_e32 v6, s1
	v_add_co_u32_e32 v0, vcc, s0, v0
	v_addc_co_u32_e32 v1, vcc, v6, v1, vcc
	global_store_dwordx4 v[0:1], v[2:5], off
	s_endpgm
	.section	.rodata,"a",@progbits
	.p2align	6, 0x0
	.amdhsa_kernel _Z20warp_exchange_kernelILj256ELj1ELj64EN6common18BlockedToStripedOpEoEvPT3_j
		.amdhsa_group_segment_fixed_size 4096
		.amdhsa_private_segment_fixed_size 0
		.amdhsa_kernarg_size 12
		.amdhsa_user_sgpr_count 6
		.amdhsa_user_sgpr_private_segment_buffer 1
		.amdhsa_user_sgpr_dispatch_ptr 0
		.amdhsa_user_sgpr_queue_ptr 0
		.amdhsa_user_sgpr_kernarg_segment_ptr 1
		.amdhsa_user_sgpr_dispatch_id 0
		.amdhsa_user_sgpr_flat_scratch_init 0
		.amdhsa_user_sgpr_kernarg_preload_length 0
		.amdhsa_user_sgpr_kernarg_preload_offset 0
		.amdhsa_user_sgpr_private_segment_size 0
		.amdhsa_uses_dynamic_stack 0
		.amdhsa_system_sgpr_private_segment_wavefront_offset 0
		.amdhsa_system_sgpr_workgroup_id_x 1
		.amdhsa_system_sgpr_workgroup_id_y 0
		.amdhsa_system_sgpr_workgroup_id_z 0
		.amdhsa_system_sgpr_workgroup_info 0
		.amdhsa_system_vgpr_workitem_id 0
		.amdhsa_next_free_vgpr 7
		.amdhsa_next_free_sgpr 7
		.amdhsa_accum_offset 8
		.amdhsa_reserve_vcc 1
		.amdhsa_reserve_flat_scratch 0
		.amdhsa_float_round_mode_32 0
		.amdhsa_float_round_mode_16_64 0
		.amdhsa_float_denorm_mode_32 3
		.amdhsa_float_denorm_mode_16_64 3
		.amdhsa_dx10_clamp 1
		.amdhsa_ieee_mode 1
		.amdhsa_fp16_overflow 0
		.amdhsa_tg_split 0
		.amdhsa_exception_fp_ieee_invalid_op 0
		.amdhsa_exception_fp_denorm_src 0
		.amdhsa_exception_fp_ieee_div_zero 0
		.amdhsa_exception_fp_ieee_overflow 0
		.amdhsa_exception_fp_ieee_underflow 0
		.amdhsa_exception_fp_ieee_inexact 0
		.amdhsa_exception_int_div_zero 0
	.end_amdhsa_kernel
	.section	.text._Z20warp_exchange_kernelILj256ELj1ELj64EN6common18BlockedToStripedOpEoEvPT3_j,"axG",@progbits,_Z20warp_exchange_kernelILj256ELj1ELj64EN6common18BlockedToStripedOpEoEvPT3_j,comdat
.Lfunc_end128:
	.size	_Z20warp_exchange_kernelILj256ELj1ELj64EN6common18BlockedToStripedOpEoEvPT3_j, .Lfunc_end128-_Z20warp_exchange_kernelILj256ELj1ELj64EN6common18BlockedToStripedOpEoEvPT3_j
                                        ; -- End function
	.section	.AMDGPU.csdata,"",@progbits
; Kernel info:
; codeLenInByte = 176
; NumSgprs: 11
; NumVgprs: 7
; NumAgprs: 0
; TotalNumVgprs: 7
; ScratchSize: 0
; MemoryBound: 0
; FloatMode: 240
; IeeeMode: 1
; LDSByteSize: 4096 bytes/workgroup (compile time only)
; SGPRBlocks: 1
; VGPRBlocks: 0
; NumSGPRsForWavesPerEU: 11
; NumVGPRsForWavesPerEU: 7
; AccumOffset: 8
; Occupancy: 8
; WaveLimiterHint : 0
; COMPUTE_PGM_RSRC2:SCRATCH_EN: 0
; COMPUTE_PGM_RSRC2:USER_SGPR: 6
; COMPUTE_PGM_RSRC2:TRAP_HANDLER: 0
; COMPUTE_PGM_RSRC2:TGID_X_EN: 1
; COMPUTE_PGM_RSRC2:TGID_Y_EN: 0
; COMPUTE_PGM_RSRC2:TGID_Z_EN: 0
; COMPUTE_PGM_RSRC2:TIDIG_COMP_CNT: 0
; COMPUTE_PGM_RSRC3_GFX90A:ACCUM_OFFSET: 1
; COMPUTE_PGM_RSRC3_GFX90A:TG_SPLIT: 0
	.section	.text._Z20warp_exchange_kernelILj256ELj4ELj64EN6common18BlockedToStripedOpEoEvPT3_j,"axG",@progbits,_Z20warp_exchange_kernelILj256ELj4ELj64EN6common18BlockedToStripedOpEoEvPT3_j,comdat
	.protected	_Z20warp_exchange_kernelILj256ELj4ELj64EN6common18BlockedToStripedOpEoEvPT3_j ; -- Begin function _Z20warp_exchange_kernelILj256ELj4ELj64EN6common18BlockedToStripedOpEoEvPT3_j
	.globl	_Z20warp_exchange_kernelILj256ELj4ELj64EN6common18BlockedToStripedOpEoEvPT3_j
	.p2align	8
	.type	_Z20warp_exchange_kernelILj256ELj4ELj64EN6common18BlockedToStripedOpEoEvPT3_j,@function
_Z20warp_exchange_kernelILj256ELj4ELj64EN6common18BlockedToStripedOpEoEvPT3_j: ; @_Z20warp_exchange_kernelILj256ELj4ELj64EN6common18BlockedToStripedOpEoEvPT3_j
; %bb.0:
	s_load_dword s0, s[4:5], 0x8
	v_lshlrev_b32_e32 v18, 2, v0
	v_or_b32_e32 v10, 1, v18
	v_or_b32_e32 v6, 2, v18
	;; [unrolled: 1-line block ×3, first 2 shown]
	s_waitcnt lgkmcnt(0)
	s_cmp_eq_u32 s0, 0
	s_cbranch_scc1 .LBB129_3
; %bb.1:
	v_lshlrev_b32_e32 v0, 6, v0
	v_mov_b32_e32 v3, 0
	v_and_b32_e32 v1, 0x3000, v0
	v_mbcnt_lo_u32_b32 v0, -1, 0
	v_pk_mov_b32 v[4:5], 0, 0
	v_mov_b32_e32 v19, v3
	v_mbcnt_hi_u32_b32 v8, -1, v0
	v_pk_mov_b32 v[16:17], 0, 0
	v_mov_b32_e32 v7, v3
	v_mov_b32_e32 v11, v3
	v_lshl_add_u32 v0, v8, 6, v1
	v_lshl_or_b32 v1, v8, 4, v1
	v_pk_mov_b32 v[8:9], v[4:5], v[4:5] op_sel:[0,1]
	v_pk_mov_b32 v[12:13], v[4:5], v[4:5] op_sel:[0,1]
	;; [unrolled: 1-line block ×3, first 2 shown]
.LBB129_2:                              ; =>This Inner Loop Header: Depth=1
	s_waitcnt lgkmcnt(3)
	ds_write_b128 v0, v[14:17]
	s_waitcnt lgkmcnt(3)
	ds_write_b128 v0, v[10:13] offset:16
	s_waitcnt lgkmcnt(3)
	ds_write_b128 v0, v[6:9] offset:32
	;; [unrolled: 2-line block ×3, first 2 shown]
	; wave barrier
	ds_read_b128 v[14:17], v1
	ds_read_b128 v[10:13], v1 offset:1024
	ds_read_b128 v[6:9], v1 offset:2048
	ds_read_b128 v[2:5], v1 offset:3072
	s_add_i32 s0, s0, -1
	s_cmp_lg_u32 s0, 0
	; wave barrier
	s_cbranch_scc1 .LBB129_2
	s_branch .LBB129_4
.LBB129_3:
	v_mov_b32_e32 v19, 0
	v_pk_mov_b32 v[16:17], 0, 0
	v_pk_mov_b32 v[4:5], 0, 0
	v_mov_b32_e32 v11, v19
	v_mov_b32_e32 v7, v19
	;; [unrolled: 1-line block ×3, first 2 shown]
	v_pk_mov_b32 v[14:15], v[18:19], v[18:19] op_sel:[0,1]
	v_pk_mov_b32 v[12:13], v[16:17], v[16:17] op_sel:[0,1]
	;; [unrolled: 1-line block ×3, first 2 shown]
.LBB129_4:
	s_load_dwordx2 s[0:1], s[4:5], 0x0
	v_lshl_or_b32 v0, s6, 10, v18
	v_mov_b32_e32 v1, 0
	v_lshlrev_b64 v[0:1], 4, v[0:1]
	s_waitcnt lgkmcnt(0)
	v_mov_b32_e32 v18, s1
	v_add_co_u32_e32 v0, vcc, s0, v0
	v_addc_co_u32_e32 v1, vcc, v18, v1, vcc
	global_store_dwordx4 v[0:1], v[14:17], off
	global_store_dwordx4 v[0:1], v[10:13], off offset:16
	global_store_dwordx4 v[0:1], v[6:9], off offset:32
	;; [unrolled: 1-line block ×3, first 2 shown]
	s_endpgm
	.section	.rodata,"a",@progbits
	.p2align	6, 0x0
	.amdhsa_kernel _Z20warp_exchange_kernelILj256ELj4ELj64EN6common18BlockedToStripedOpEoEvPT3_j
		.amdhsa_group_segment_fixed_size 16384
		.amdhsa_private_segment_fixed_size 0
		.amdhsa_kernarg_size 12
		.amdhsa_user_sgpr_count 6
		.amdhsa_user_sgpr_private_segment_buffer 1
		.amdhsa_user_sgpr_dispatch_ptr 0
		.amdhsa_user_sgpr_queue_ptr 0
		.amdhsa_user_sgpr_kernarg_segment_ptr 1
		.amdhsa_user_sgpr_dispatch_id 0
		.amdhsa_user_sgpr_flat_scratch_init 0
		.amdhsa_user_sgpr_kernarg_preload_length 0
		.amdhsa_user_sgpr_kernarg_preload_offset 0
		.amdhsa_user_sgpr_private_segment_size 0
		.amdhsa_uses_dynamic_stack 0
		.amdhsa_system_sgpr_private_segment_wavefront_offset 0
		.amdhsa_system_sgpr_workgroup_id_x 1
		.amdhsa_system_sgpr_workgroup_id_y 0
		.amdhsa_system_sgpr_workgroup_id_z 0
		.amdhsa_system_sgpr_workgroup_info 0
		.amdhsa_system_vgpr_workitem_id 0
		.amdhsa_next_free_vgpr 20
		.amdhsa_next_free_sgpr 7
		.amdhsa_accum_offset 20
		.amdhsa_reserve_vcc 1
		.amdhsa_reserve_flat_scratch 0
		.amdhsa_float_round_mode_32 0
		.amdhsa_float_round_mode_16_64 0
		.amdhsa_float_denorm_mode_32 3
		.amdhsa_float_denorm_mode_16_64 3
		.amdhsa_dx10_clamp 1
		.amdhsa_ieee_mode 1
		.amdhsa_fp16_overflow 0
		.amdhsa_tg_split 0
		.amdhsa_exception_fp_ieee_invalid_op 0
		.amdhsa_exception_fp_denorm_src 0
		.amdhsa_exception_fp_ieee_div_zero 0
		.amdhsa_exception_fp_ieee_overflow 0
		.amdhsa_exception_fp_ieee_underflow 0
		.amdhsa_exception_fp_ieee_inexact 0
		.amdhsa_exception_int_div_zero 0
	.end_amdhsa_kernel
	.section	.text._Z20warp_exchange_kernelILj256ELj4ELj64EN6common18BlockedToStripedOpEoEvPT3_j,"axG",@progbits,_Z20warp_exchange_kernelILj256ELj4ELj64EN6common18BlockedToStripedOpEoEvPT3_j,comdat
.Lfunc_end129:
	.size	_Z20warp_exchange_kernelILj256ELj4ELj64EN6common18BlockedToStripedOpEoEvPT3_j, .Lfunc_end129-_Z20warp_exchange_kernelILj256ELj4ELj64EN6common18BlockedToStripedOpEoEvPT3_j
                                        ; -- End function
	.section	.AMDGPU.csdata,"",@progbits
; Kernel info:
; codeLenInByte = 368
; NumSgprs: 11
; NumVgprs: 20
; NumAgprs: 0
; TotalNumVgprs: 20
; ScratchSize: 0
; MemoryBound: 0
; FloatMode: 240
; IeeeMode: 1
; LDSByteSize: 16384 bytes/workgroup (compile time only)
; SGPRBlocks: 1
; VGPRBlocks: 2
; NumSGPRsForWavesPerEU: 11
; NumVGPRsForWavesPerEU: 20
; AccumOffset: 20
; Occupancy: 4
; WaveLimiterHint : 0
; COMPUTE_PGM_RSRC2:SCRATCH_EN: 0
; COMPUTE_PGM_RSRC2:USER_SGPR: 6
; COMPUTE_PGM_RSRC2:TRAP_HANDLER: 0
; COMPUTE_PGM_RSRC2:TGID_X_EN: 1
; COMPUTE_PGM_RSRC2:TGID_Y_EN: 0
; COMPUTE_PGM_RSRC2:TGID_Z_EN: 0
; COMPUTE_PGM_RSRC2:TIDIG_COMP_CNT: 0
; COMPUTE_PGM_RSRC3_GFX90A:ACCUM_OFFSET: 4
; COMPUTE_PGM_RSRC3_GFX90A:TG_SPLIT: 0
	.section	.text._Z20warp_exchange_kernelILj256ELj16ELj64EN6common18BlockedToStripedOpEoEvPT3_j,"axG",@progbits,_Z20warp_exchange_kernelILj256ELj16ELj64EN6common18BlockedToStripedOpEoEvPT3_j,comdat
	.protected	_Z20warp_exchange_kernelILj256ELj16ELj64EN6common18BlockedToStripedOpEoEvPT3_j ; -- Begin function _Z20warp_exchange_kernelILj256ELj16ELj64EN6common18BlockedToStripedOpEoEvPT3_j
	.globl	_Z20warp_exchange_kernelILj256ELj16ELj64EN6common18BlockedToStripedOpEoEvPT3_j
	.p2align	8
	.type	_Z20warp_exchange_kernelILj256ELj16ELj64EN6common18BlockedToStripedOpEoEvPT3_j,@function
_Z20warp_exchange_kernelILj256ELj16ELj64EN6common18BlockedToStripedOpEoEvPT3_j: ; @_Z20warp_exchange_kernelILj256ELj16ELj64EN6common18BlockedToStripedOpEoEvPT3_j
; %bb.0:
	s_load_dword s0, s[4:5], 0x8
	v_lshlrev_b32_e32 v66, 4, v0
	v_or_b32_e32 v58, 1, v66
	v_or_b32_e32 v54, 2, v66
	;; [unrolled: 1-line block ×14, first 2 shown]
	s_waitcnt lgkmcnt(0)
	s_cmp_eq_u32 s0, 0
	v_or_b32_e32 v2, 15, v66
	s_cbranch_scc1 .LBB130_3
; %bb.1:
	v_lshlrev_b32_e32 v0, 8, v0
	v_mov_b32_e32 v3, 0
	v_and_b32_e32 v1, 0xc000, v0
	v_mbcnt_lo_u32_b32 v0, -1, 0
	v_pk_mov_b32 v[4:5], 0, 0
	v_mov_b32_e32 v67, v3
	v_mbcnt_hi_u32_b32 v8, -1, v0
	v_pk_mov_b32 v[64:65], 0, 0
	v_mov_b32_e32 v7, v3
	v_mov_b32_e32 v11, v3
	;; [unrolled: 1-line block ×14, first 2 shown]
	v_lshl_add_u32 v0, v8, 8, v1
	v_lshl_or_b32 v1, v8, 4, v1
	v_pk_mov_b32 v[8:9], v[4:5], v[4:5] op_sel:[0,1]
	v_pk_mov_b32 v[12:13], v[4:5], v[4:5] op_sel:[0,1]
	;; [unrolled: 1-line block ×15, first 2 shown]
.LBB130_2:                              ; =>This Inner Loop Header: Depth=1
	s_waitcnt lgkmcnt(14)
	ds_write_b128 v0, v[62:65]
	ds_write_b128 v0, v[58:61] offset:16
	s_waitcnt lgkmcnt(14)
	ds_write_b128 v0, v[54:57] offset:32
	ds_write_b128 v0, v[50:53] offset:48
	s_waitcnt lgkmcnt(14)
	ds_write_b128 v0, v[46:49] offset:64
	;; [unrolled: 3-line block ×7, first 2 shown]
	ds_write_b128 v0, v[2:5] offset:240
	; wave barrier
	ds_read_b128 v[62:65], v1
	ds_read_b128 v[58:61], v1 offset:1024
	ds_read_b128 v[54:57], v1 offset:2048
	;; [unrolled: 1-line block ×15, first 2 shown]
	s_add_i32 s0, s0, -1
	s_cmp_lg_u32 s0, 0
	; wave barrier
	s_cbranch_scc1 .LBB130_2
	s_branch .LBB130_4
.LBB130_3:
	v_mov_b32_e32 v67, 0
	v_pk_mov_b32 v[64:65], 0, 0
	v_pk_mov_b32 v[4:5], 0, 0
	v_mov_b32_e32 v59, v67
	v_mov_b32_e32 v55, v67
	;; [unrolled: 1-line block ×15, first 2 shown]
	v_pk_mov_b32 v[62:63], v[66:67], v[66:67] op_sel:[0,1]
	v_pk_mov_b32 v[60:61], v[64:65], v[64:65] op_sel:[0,1]
	v_pk_mov_b32 v[56:57], v[64:65], v[64:65] op_sel:[0,1]
	v_pk_mov_b32 v[52:53], v[64:65], v[64:65] op_sel:[0,1]
	v_pk_mov_b32 v[48:49], v[64:65], v[64:65] op_sel:[0,1]
	v_pk_mov_b32 v[44:45], v[64:65], v[64:65] op_sel:[0,1]
	v_pk_mov_b32 v[40:41], v[64:65], v[64:65] op_sel:[0,1]
	v_pk_mov_b32 v[36:37], v[64:65], v[64:65] op_sel:[0,1]
	v_pk_mov_b32 v[32:33], v[64:65], v[64:65] op_sel:[0,1]
	v_pk_mov_b32 v[28:29], v[64:65], v[64:65] op_sel:[0,1]
	v_pk_mov_b32 v[24:25], v[64:65], v[64:65] op_sel:[0,1]
	v_pk_mov_b32 v[20:21], v[64:65], v[64:65] op_sel:[0,1]
	v_pk_mov_b32 v[16:17], v[64:65], v[64:65] op_sel:[0,1]
	v_pk_mov_b32 v[12:13], v[64:65], v[64:65] op_sel:[0,1]
	v_pk_mov_b32 v[8:9], v[64:65], v[64:65] op_sel:[0,1]
.LBB130_4:
	s_load_dwordx2 s[0:1], s[4:5], 0x0
	v_lshl_or_b32 v0, s6, 12, v66
	v_mov_b32_e32 v1, 0
	v_lshlrev_b64 v[0:1], 4, v[0:1]
	s_waitcnt lgkmcnt(0)
	v_mov_b32_e32 v66, s1
	v_add_co_u32_e32 v0, vcc, s0, v0
	v_addc_co_u32_e32 v1, vcc, v66, v1, vcc
	global_store_dwordx4 v[0:1], v[62:65], off
	global_store_dwordx4 v[0:1], v[58:61], off offset:16
	global_store_dwordx4 v[0:1], v[54:57], off offset:32
	;; [unrolled: 1-line block ×15, first 2 shown]
	s_endpgm
	.section	.rodata,"a",@progbits
	.p2align	6, 0x0
	.amdhsa_kernel _Z20warp_exchange_kernelILj256ELj16ELj64EN6common18BlockedToStripedOpEoEvPT3_j
		.amdhsa_group_segment_fixed_size 65536
		.amdhsa_private_segment_fixed_size 0
		.amdhsa_kernarg_size 12
		.amdhsa_user_sgpr_count 6
		.amdhsa_user_sgpr_private_segment_buffer 1
		.amdhsa_user_sgpr_dispatch_ptr 0
		.amdhsa_user_sgpr_queue_ptr 0
		.amdhsa_user_sgpr_kernarg_segment_ptr 1
		.amdhsa_user_sgpr_dispatch_id 0
		.amdhsa_user_sgpr_flat_scratch_init 0
		.amdhsa_user_sgpr_kernarg_preload_length 0
		.amdhsa_user_sgpr_kernarg_preload_offset 0
		.amdhsa_user_sgpr_private_segment_size 0
		.amdhsa_uses_dynamic_stack 0
		.amdhsa_system_sgpr_private_segment_wavefront_offset 0
		.amdhsa_system_sgpr_workgroup_id_x 1
		.amdhsa_system_sgpr_workgroup_id_y 0
		.amdhsa_system_sgpr_workgroup_id_z 0
		.amdhsa_system_sgpr_workgroup_info 0
		.amdhsa_system_vgpr_workitem_id 0
		.amdhsa_next_free_vgpr 68
		.amdhsa_next_free_sgpr 7
		.amdhsa_accum_offset 68
		.amdhsa_reserve_vcc 1
		.amdhsa_reserve_flat_scratch 0
		.amdhsa_float_round_mode_32 0
		.amdhsa_float_round_mode_16_64 0
		.amdhsa_float_denorm_mode_32 3
		.amdhsa_float_denorm_mode_16_64 3
		.amdhsa_dx10_clamp 1
		.amdhsa_ieee_mode 1
		.amdhsa_fp16_overflow 0
		.amdhsa_tg_split 0
		.amdhsa_exception_fp_ieee_invalid_op 0
		.amdhsa_exception_fp_denorm_src 0
		.amdhsa_exception_fp_ieee_div_zero 0
		.amdhsa_exception_fp_ieee_overflow 0
		.amdhsa_exception_fp_ieee_underflow 0
		.amdhsa_exception_fp_ieee_inexact 0
		.amdhsa_exception_int_div_zero 0
	.end_amdhsa_kernel
	.section	.text._Z20warp_exchange_kernelILj256ELj16ELj64EN6common18BlockedToStripedOpEoEvPT3_j,"axG",@progbits,_Z20warp_exchange_kernelILj256ELj16ELj64EN6common18BlockedToStripedOpEoEvPT3_j,comdat
.Lfunc_end130:
	.size	_Z20warp_exchange_kernelILj256ELj16ELj64EN6common18BlockedToStripedOpEoEvPT3_j, .Lfunc_end130-_Z20warp_exchange_kernelILj256ELj16ELj64EN6common18BlockedToStripedOpEoEvPT3_j
                                        ; -- End function
	.section	.AMDGPU.csdata,"",@progbits
; Kernel info:
; codeLenInByte = 1008
; NumSgprs: 11
; NumVgprs: 68
; NumAgprs: 0
; TotalNumVgprs: 68
; ScratchSize: 0
; MemoryBound: 1
; FloatMode: 240
; IeeeMode: 1
; LDSByteSize: 65536 bytes/workgroup (compile time only)
; SGPRBlocks: 1
; VGPRBlocks: 8
; NumSGPRsForWavesPerEU: 11
; NumVGPRsForWavesPerEU: 68
; AccumOffset: 68
; Occupancy: 1
; WaveLimiterHint : 1
; COMPUTE_PGM_RSRC2:SCRATCH_EN: 0
; COMPUTE_PGM_RSRC2:USER_SGPR: 6
; COMPUTE_PGM_RSRC2:TRAP_HANDLER: 0
; COMPUTE_PGM_RSRC2:TGID_X_EN: 1
; COMPUTE_PGM_RSRC2:TGID_Y_EN: 0
; COMPUTE_PGM_RSRC2:TGID_Z_EN: 0
; COMPUTE_PGM_RSRC2:TIDIG_COMP_CNT: 0
; COMPUTE_PGM_RSRC3_GFX90A:ACCUM_OFFSET: 16
; COMPUTE_PGM_RSRC3_GFX90A:TG_SPLIT: 0
	.section	.text._Z20warp_exchange_kernelILj256ELj1ELj64EN6common18StripedToBlockedOpEoEvPT3_j,"axG",@progbits,_Z20warp_exchange_kernelILj256ELj1ELj64EN6common18StripedToBlockedOpEoEvPT3_j,comdat
	.protected	_Z20warp_exchange_kernelILj256ELj1ELj64EN6common18StripedToBlockedOpEoEvPT3_j ; -- Begin function _Z20warp_exchange_kernelILj256ELj1ELj64EN6common18StripedToBlockedOpEoEvPT3_j
	.globl	_Z20warp_exchange_kernelILj256ELj1ELj64EN6common18StripedToBlockedOpEoEvPT3_j
	.p2align	8
	.type	_Z20warp_exchange_kernelILj256ELj1ELj64EN6common18StripedToBlockedOpEoEvPT3_j,@function
_Z20warp_exchange_kernelILj256ELj1ELj64EN6common18StripedToBlockedOpEoEvPT3_j: ; @_Z20warp_exchange_kernelILj256ELj1ELj64EN6common18StripedToBlockedOpEoEvPT3_j
; %bb.0:
	s_load_dword s0, s[4:5], 0x8
	v_mov_b32_e32 v1, 0
	v_pk_mov_b32 v[4:5], 0, 0
	s_waitcnt lgkmcnt(0)
	s_cmp_eq_u32 s0, 0
	s_cbranch_scc1 .LBB131_3
; %bb.1:
	v_lshlrev_b32_e32 v2, 4, v0
	v_mbcnt_lo_u32_b32 v3, -1, 0
	v_and_b32_e32 v2, 0xc00, v2
	v_mbcnt_hi_u32_b32 v3, -1, v3
	v_lshl_add_u32 v6, v3, 4, v2
	v_pk_mov_b32 v[2:3], v[0:1], v[0:1] op_sel:[0,1]
.LBB131_2:                              ; =>This Inner Loop Header: Depth=1
	s_waitcnt lgkmcnt(0)
	ds_write_b128 v6, v[2:5]
	; wave barrier
	ds_read_b128 v[2:5], v6
	s_add_i32 s0, s0, -1
	s_cmp_lg_u32 s0, 0
	; wave barrier
	s_cbranch_scc1 .LBB131_2
	s_branch .LBB131_4
.LBB131_3:
	v_pk_mov_b32 v[2:3], v[0:1], v[0:1] op_sel:[0,1]
.LBB131_4:
	s_load_dwordx2 s[0:1], s[4:5], 0x0
	v_lshl_or_b32 v0, s6, 8, v0
	v_mov_b32_e32 v1, 0
	v_lshlrev_b64 v[0:1], 4, v[0:1]
	s_waitcnt lgkmcnt(0)
	v_mov_b32_e32 v6, s1
	v_add_co_u32_e32 v0, vcc, s0, v0
	v_addc_co_u32_e32 v1, vcc, v6, v1, vcc
	global_store_dwordx4 v[0:1], v[2:5], off
	s_endpgm
	.section	.rodata,"a",@progbits
	.p2align	6, 0x0
	.amdhsa_kernel _Z20warp_exchange_kernelILj256ELj1ELj64EN6common18StripedToBlockedOpEoEvPT3_j
		.amdhsa_group_segment_fixed_size 4096
		.amdhsa_private_segment_fixed_size 0
		.amdhsa_kernarg_size 12
		.amdhsa_user_sgpr_count 6
		.amdhsa_user_sgpr_private_segment_buffer 1
		.amdhsa_user_sgpr_dispatch_ptr 0
		.amdhsa_user_sgpr_queue_ptr 0
		.amdhsa_user_sgpr_kernarg_segment_ptr 1
		.amdhsa_user_sgpr_dispatch_id 0
		.amdhsa_user_sgpr_flat_scratch_init 0
		.amdhsa_user_sgpr_kernarg_preload_length 0
		.amdhsa_user_sgpr_kernarg_preload_offset 0
		.amdhsa_user_sgpr_private_segment_size 0
		.amdhsa_uses_dynamic_stack 0
		.amdhsa_system_sgpr_private_segment_wavefront_offset 0
		.amdhsa_system_sgpr_workgroup_id_x 1
		.amdhsa_system_sgpr_workgroup_id_y 0
		.amdhsa_system_sgpr_workgroup_id_z 0
		.amdhsa_system_sgpr_workgroup_info 0
		.amdhsa_system_vgpr_workitem_id 0
		.amdhsa_next_free_vgpr 7
		.amdhsa_next_free_sgpr 7
		.amdhsa_accum_offset 8
		.amdhsa_reserve_vcc 1
		.amdhsa_reserve_flat_scratch 0
		.amdhsa_float_round_mode_32 0
		.amdhsa_float_round_mode_16_64 0
		.amdhsa_float_denorm_mode_32 3
		.amdhsa_float_denorm_mode_16_64 3
		.amdhsa_dx10_clamp 1
		.amdhsa_ieee_mode 1
		.amdhsa_fp16_overflow 0
		.amdhsa_tg_split 0
		.amdhsa_exception_fp_ieee_invalid_op 0
		.amdhsa_exception_fp_denorm_src 0
		.amdhsa_exception_fp_ieee_div_zero 0
		.amdhsa_exception_fp_ieee_overflow 0
		.amdhsa_exception_fp_ieee_underflow 0
		.amdhsa_exception_fp_ieee_inexact 0
		.amdhsa_exception_int_div_zero 0
	.end_amdhsa_kernel
	.section	.text._Z20warp_exchange_kernelILj256ELj1ELj64EN6common18StripedToBlockedOpEoEvPT3_j,"axG",@progbits,_Z20warp_exchange_kernelILj256ELj1ELj64EN6common18StripedToBlockedOpEoEvPT3_j,comdat
.Lfunc_end131:
	.size	_Z20warp_exchange_kernelILj256ELj1ELj64EN6common18StripedToBlockedOpEoEvPT3_j, .Lfunc_end131-_Z20warp_exchange_kernelILj256ELj1ELj64EN6common18StripedToBlockedOpEoEvPT3_j
                                        ; -- End function
	.section	.AMDGPU.csdata,"",@progbits
; Kernel info:
; codeLenInByte = 176
; NumSgprs: 11
; NumVgprs: 7
; NumAgprs: 0
; TotalNumVgprs: 7
; ScratchSize: 0
; MemoryBound: 0
; FloatMode: 240
; IeeeMode: 1
; LDSByteSize: 4096 bytes/workgroup (compile time only)
; SGPRBlocks: 1
; VGPRBlocks: 0
; NumSGPRsForWavesPerEU: 11
; NumVGPRsForWavesPerEU: 7
; AccumOffset: 8
; Occupancy: 8
; WaveLimiterHint : 0
; COMPUTE_PGM_RSRC2:SCRATCH_EN: 0
; COMPUTE_PGM_RSRC2:USER_SGPR: 6
; COMPUTE_PGM_RSRC2:TRAP_HANDLER: 0
; COMPUTE_PGM_RSRC2:TGID_X_EN: 1
; COMPUTE_PGM_RSRC2:TGID_Y_EN: 0
; COMPUTE_PGM_RSRC2:TGID_Z_EN: 0
; COMPUTE_PGM_RSRC2:TIDIG_COMP_CNT: 0
; COMPUTE_PGM_RSRC3_GFX90A:ACCUM_OFFSET: 1
; COMPUTE_PGM_RSRC3_GFX90A:TG_SPLIT: 0
	.section	.text._Z20warp_exchange_kernelILj256ELj4ELj64EN6common18StripedToBlockedOpEoEvPT3_j,"axG",@progbits,_Z20warp_exchange_kernelILj256ELj4ELj64EN6common18StripedToBlockedOpEoEvPT3_j,comdat
	.protected	_Z20warp_exchange_kernelILj256ELj4ELj64EN6common18StripedToBlockedOpEoEvPT3_j ; -- Begin function _Z20warp_exchange_kernelILj256ELj4ELj64EN6common18StripedToBlockedOpEoEvPT3_j
	.globl	_Z20warp_exchange_kernelILj256ELj4ELj64EN6common18StripedToBlockedOpEoEvPT3_j
	.p2align	8
	.type	_Z20warp_exchange_kernelILj256ELj4ELj64EN6common18StripedToBlockedOpEoEvPT3_j,@function
_Z20warp_exchange_kernelILj256ELj4ELj64EN6common18StripedToBlockedOpEoEvPT3_j: ; @_Z20warp_exchange_kernelILj256ELj4ELj64EN6common18StripedToBlockedOpEoEvPT3_j
; %bb.0:
	s_load_dword s0, s[4:5], 0x8
	v_lshlrev_b32_e32 v18, 2, v0
	v_or_b32_e32 v10, 1, v18
	v_or_b32_e32 v6, 2, v18
	;; [unrolled: 1-line block ×3, first 2 shown]
	s_waitcnt lgkmcnt(0)
	s_cmp_eq_u32 s0, 0
	s_cbranch_scc1 .LBB132_3
; %bb.1:
	v_lshlrev_b32_e32 v0, 6, v0
	v_mov_b32_e32 v3, 0
	v_and_b32_e32 v1, 0x3000, v0
	v_mbcnt_lo_u32_b32 v0, -1, 0
	v_pk_mov_b32 v[4:5], 0, 0
	v_mov_b32_e32 v19, v3
	v_mbcnt_hi_u32_b32 v8, -1, v0
	v_pk_mov_b32 v[16:17], 0, 0
	v_mov_b32_e32 v7, v3
	v_mov_b32_e32 v11, v3
	v_lshl_or_b32 v0, v8, 4, v1
	v_lshl_add_u32 v1, v8, 6, v1
	v_pk_mov_b32 v[8:9], v[4:5], v[4:5] op_sel:[0,1]
	v_pk_mov_b32 v[12:13], v[4:5], v[4:5] op_sel:[0,1]
	;; [unrolled: 1-line block ×3, first 2 shown]
.LBB132_2:                              ; =>This Inner Loop Header: Depth=1
	s_waitcnt lgkmcnt(3)
	ds_write_b128 v0, v[14:17]
	s_waitcnt lgkmcnt(3)
	ds_write_b128 v0, v[10:13] offset:1024
	s_waitcnt lgkmcnt(3)
	ds_write_b128 v0, v[6:9] offset:2048
	;; [unrolled: 2-line block ×3, first 2 shown]
	; wave barrier
	ds_read_b128 v[14:17], v1
	ds_read_b128 v[10:13], v1 offset:16
	ds_read_b128 v[6:9], v1 offset:32
	;; [unrolled: 1-line block ×3, first 2 shown]
	s_add_i32 s0, s0, -1
	s_cmp_lg_u32 s0, 0
	; wave barrier
	s_cbranch_scc1 .LBB132_2
	s_branch .LBB132_4
.LBB132_3:
	v_mov_b32_e32 v19, 0
	v_pk_mov_b32 v[16:17], 0, 0
	v_pk_mov_b32 v[4:5], 0, 0
	v_mov_b32_e32 v11, v19
	v_mov_b32_e32 v7, v19
	;; [unrolled: 1-line block ×3, first 2 shown]
	v_pk_mov_b32 v[14:15], v[18:19], v[18:19] op_sel:[0,1]
	v_pk_mov_b32 v[12:13], v[16:17], v[16:17] op_sel:[0,1]
	;; [unrolled: 1-line block ×3, first 2 shown]
.LBB132_4:
	s_load_dwordx2 s[0:1], s[4:5], 0x0
	v_lshl_or_b32 v0, s6, 10, v18
	v_mov_b32_e32 v1, 0
	v_lshlrev_b64 v[0:1], 4, v[0:1]
	s_waitcnt lgkmcnt(0)
	v_mov_b32_e32 v18, s1
	v_add_co_u32_e32 v0, vcc, s0, v0
	v_addc_co_u32_e32 v1, vcc, v18, v1, vcc
	global_store_dwordx4 v[0:1], v[14:17], off
	global_store_dwordx4 v[0:1], v[10:13], off offset:16
	global_store_dwordx4 v[0:1], v[6:9], off offset:32
	;; [unrolled: 1-line block ×3, first 2 shown]
	s_endpgm
	.section	.rodata,"a",@progbits
	.p2align	6, 0x0
	.amdhsa_kernel _Z20warp_exchange_kernelILj256ELj4ELj64EN6common18StripedToBlockedOpEoEvPT3_j
		.amdhsa_group_segment_fixed_size 16384
		.amdhsa_private_segment_fixed_size 0
		.amdhsa_kernarg_size 12
		.amdhsa_user_sgpr_count 6
		.amdhsa_user_sgpr_private_segment_buffer 1
		.amdhsa_user_sgpr_dispatch_ptr 0
		.amdhsa_user_sgpr_queue_ptr 0
		.amdhsa_user_sgpr_kernarg_segment_ptr 1
		.amdhsa_user_sgpr_dispatch_id 0
		.amdhsa_user_sgpr_flat_scratch_init 0
		.amdhsa_user_sgpr_kernarg_preload_length 0
		.amdhsa_user_sgpr_kernarg_preload_offset 0
		.amdhsa_user_sgpr_private_segment_size 0
		.amdhsa_uses_dynamic_stack 0
		.amdhsa_system_sgpr_private_segment_wavefront_offset 0
		.amdhsa_system_sgpr_workgroup_id_x 1
		.amdhsa_system_sgpr_workgroup_id_y 0
		.amdhsa_system_sgpr_workgroup_id_z 0
		.amdhsa_system_sgpr_workgroup_info 0
		.amdhsa_system_vgpr_workitem_id 0
		.amdhsa_next_free_vgpr 20
		.amdhsa_next_free_sgpr 7
		.amdhsa_accum_offset 20
		.amdhsa_reserve_vcc 1
		.amdhsa_reserve_flat_scratch 0
		.amdhsa_float_round_mode_32 0
		.amdhsa_float_round_mode_16_64 0
		.amdhsa_float_denorm_mode_32 3
		.amdhsa_float_denorm_mode_16_64 3
		.amdhsa_dx10_clamp 1
		.amdhsa_ieee_mode 1
		.amdhsa_fp16_overflow 0
		.amdhsa_tg_split 0
		.amdhsa_exception_fp_ieee_invalid_op 0
		.amdhsa_exception_fp_denorm_src 0
		.amdhsa_exception_fp_ieee_div_zero 0
		.amdhsa_exception_fp_ieee_overflow 0
		.amdhsa_exception_fp_ieee_underflow 0
		.amdhsa_exception_fp_ieee_inexact 0
		.amdhsa_exception_int_div_zero 0
	.end_amdhsa_kernel
	.section	.text._Z20warp_exchange_kernelILj256ELj4ELj64EN6common18StripedToBlockedOpEoEvPT3_j,"axG",@progbits,_Z20warp_exchange_kernelILj256ELj4ELj64EN6common18StripedToBlockedOpEoEvPT3_j,comdat
.Lfunc_end132:
	.size	_Z20warp_exchange_kernelILj256ELj4ELj64EN6common18StripedToBlockedOpEoEvPT3_j, .Lfunc_end132-_Z20warp_exchange_kernelILj256ELj4ELj64EN6common18StripedToBlockedOpEoEvPT3_j
                                        ; -- End function
	.section	.AMDGPU.csdata,"",@progbits
; Kernel info:
; codeLenInByte = 368
; NumSgprs: 11
; NumVgprs: 20
; NumAgprs: 0
; TotalNumVgprs: 20
; ScratchSize: 0
; MemoryBound: 0
; FloatMode: 240
; IeeeMode: 1
; LDSByteSize: 16384 bytes/workgroup (compile time only)
; SGPRBlocks: 1
; VGPRBlocks: 2
; NumSGPRsForWavesPerEU: 11
; NumVGPRsForWavesPerEU: 20
; AccumOffset: 20
; Occupancy: 4
; WaveLimiterHint : 0
; COMPUTE_PGM_RSRC2:SCRATCH_EN: 0
; COMPUTE_PGM_RSRC2:USER_SGPR: 6
; COMPUTE_PGM_RSRC2:TRAP_HANDLER: 0
; COMPUTE_PGM_RSRC2:TGID_X_EN: 1
; COMPUTE_PGM_RSRC2:TGID_Y_EN: 0
; COMPUTE_PGM_RSRC2:TGID_Z_EN: 0
; COMPUTE_PGM_RSRC2:TIDIG_COMP_CNT: 0
; COMPUTE_PGM_RSRC3_GFX90A:ACCUM_OFFSET: 4
; COMPUTE_PGM_RSRC3_GFX90A:TG_SPLIT: 0
	.section	.text._Z20warp_exchange_kernelILj256ELj16ELj64EN6common18StripedToBlockedOpEoEvPT3_j,"axG",@progbits,_Z20warp_exchange_kernelILj256ELj16ELj64EN6common18StripedToBlockedOpEoEvPT3_j,comdat
	.protected	_Z20warp_exchange_kernelILj256ELj16ELj64EN6common18StripedToBlockedOpEoEvPT3_j ; -- Begin function _Z20warp_exchange_kernelILj256ELj16ELj64EN6common18StripedToBlockedOpEoEvPT3_j
	.globl	_Z20warp_exchange_kernelILj256ELj16ELj64EN6common18StripedToBlockedOpEoEvPT3_j
	.p2align	8
	.type	_Z20warp_exchange_kernelILj256ELj16ELj64EN6common18StripedToBlockedOpEoEvPT3_j,@function
_Z20warp_exchange_kernelILj256ELj16ELj64EN6common18StripedToBlockedOpEoEvPT3_j: ; @_Z20warp_exchange_kernelILj256ELj16ELj64EN6common18StripedToBlockedOpEoEvPT3_j
; %bb.0:
	s_load_dword s0, s[4:5], 0x8
	v_lshlrev_b32_e32 v66, 4, v0
	v_or_b32_e32 v58, 1, v66
	v_or_b32_e32 v46, 2, v66
	;; [unrolled: 1-line block ×14, first 2 shown]
	s_waitcnt lgkmcnt(0)
	s_cmp_eq_u32 s0, 0
	v_or_b32_e32 v2, 15, v66
	s_cbranch_scc1 .LBB133_3
; %bb.1:
	v_lshlrev_b32_e32 v0, 8, v0
	v_mov_b32_e32 v3, 0
	v_and_b32_e32 v1, 0xc000, v0
	v_mbcnt_lo_u32_b32 v0, -1, 0
	v_pk_mov_b32 v[4:5], 0, 0
	v_mov_b32_e32 v67, v3
	v_mbcnt_hi_u32_b32 v8, -1, v0
	v_pk_mov_b32 v[64:65], 0, 0
	v_mov_b32_e32 v7, v3
	v_mov_b32_e32 v11, v3
	;; [unrolled: 1-line block ×14, first 2 shown]
	v_lshl_or_b32 v0, v8, 4, v1
	v_lshl_add_u32 v1, v8, 8, v1
	v_pk_mov_b32 v[8:9], v[4:5], v[4:5] op_sel:[0,1]
	v_pk_mov_b32 v[12:13], v[4:5], v[4:5] op_sel:[0,1]
	;; [unrolled: 1-line block ×15, first 2 shown]
.LBB133_2:                              ; =>This Inner Loop Header: Depth=1
	s_waitcnt lgkmcnt(14)
	ds_write_b128 v0, v[62:65]
	ds_write_b128 v0, v[58:61] offset:1024
	s_waitcnt lgkmcnt(14)
	ds_write_b128 v0, v[46:49] offset:2048
	ds_write_b128 v0, v[34:37] offset:3072
	s_waitcnt lgkmcnt(14)
	ds_write_b128 v0, v[54:57] offset:4096
	;; [unrolled: 3-line block ×7, first 2 shown]
	ds_write_b128 v0, v[2:5] offset:15360
	; wave barrier
	ds_read_b128 v[62:65], v1
	ds_read_b128 v[58:61], v1 offset:16
	ds_read_b128 v[46:49], v1 offset:32
	;; [unrolled: 1-line block ×15, first 2 shown]
	s_add_i32 s0, s0, -1
	s_cmp_lg_u32 s0, 0
	; wave barrier
	s_cbranch_scc1 .LBB133_2
	s_branch .LBB133_4
.LBB133_3:
	v_mov_b32_e32 v67, 0
	v_pk_mov_b32 v[64:65], 0, 0
	v_pk_mov_b32 v[4:5], 0, 0
	v_mov_b32_e32 v59, v67
	v_mov_b32_e32 v47, v67
	;; [unrolled: 1-line block ×15, first 2 shown]
	v_pk_mov_b32 v[62:63], v[66:67], v[66:67] op_sel:[0,1]
	v_pk_mov_b32 v[60:61], v[64:65], v[64:65] op_sel:[0,1]
	;; [unrolled: 1-line block ×15, first 2 shown]
.LBB133_4:
	s_load_dwordx2 s[0:1], s[4:5], 0x0
	v_lshl_or_b32 v0, s6, 12, v66
	v_mov_b32_e32 v1, 0
	v_lshlrev_b64 v[0:1], 4, v[0:1]
	s_waitcnt lgkmcnt(0)
	v_mov_b32_e32 v66, s1
	v_add_co_u32_e32 v0, vcc, s0, v0
	v_addc_co_u32_e32 v1, vcc, v66, v1, vcc
	global_store_dwordx4 v[0:1], v[62:65], off
	global_store_dwordx4 v[0:1], v[58:61], off offset:16
	global_store_dwordx4 v[0:1], v[46:49], off offset:32
	;; [unrolled: 1-line block ×15, first 2 shown]
	s_endpgm
	.section	.rodata,"a",@progbits
	.p2align	6, 0x0
	.amdhsa_kernel _Z20warp_exchange_kernelILj256ELj16ELj64EN6common18StripedToBlockedOpEoEvPT3_j
		.amdhsa_group_segment_fixed_size 65536
		.amdhsa_private_segment_fixed_size 0
		.amdhsa_kernarg_size 12
		.amdhsa_user_sgpr_count 6
		.amdhsa_user_sgpr_private_segment_buffer 1
		.amdhsa_user_sgpr_dispatch_ptr 0
		.amdhsa_user_sgpr_queue_ptr 0
		.amdhsa_user_sgpr_kernarg_segment_ptr 1
		.amdhsa_user_sgpr_dispatch_id 0
		.amdhsa_user_sgpr_flat_scratch_init 0
		.amdhsa_user_sgpr_kernarg_preload_length 0
		.amdhsa_user_sgpr_kernarg_preload_offset 0
		.amdhsa_user_sgpr_private_segment_size 0
		.amdhsa_uses_dynamic_stack 0
		.amdhsa_system_sgpr_private_segment_wavefront_offset 0
		.amdhsa_system_sgpr_workgroup_id_x 1
		.amdhsa_system_sgpr_workgroup_id_y 0
		.amdhsa_system_sgpr_workgroup_id_z 0
		.amdhsa_system_sgpr_workgroup_info 0
		.amdhsa_system_vgpr_workitem_id 0
		.amdhsa_next_free_vgpr 68
		.amdhsa_next_free_sgpr 7
		.amdhsa_accum_offset 68
		.amdhsa_reserve_vcc 1
		.amdhsa_reserve_flat_scratch 0
		.amdhsa_float_round_mode_32 0
		.amdhsa_float_round_mode_16_64 0
		.amdhsa_float_denorm_mode_32 3
		.amdhsa_float_denorm_mode_16_64 3
		.amdhsa_dx10_clamp 1
		.amdhsa_ieee_mode 1
		.amdhsa_fp16_overflow 0
		.amdhsa_tg_split 0
		.amdhsa_exception_fp_ieee_invalid_op 0
		.amdhsa_exception_fp_denorm_src 0
		.amdhsa_exception_fp_ieee_div_zero 0
		.amdhsa_exception_fp_ieee_overflow 0
		.amdhsa_exception_fp_ieee_underflow 0
		.amdhsa_exception_fp_ieee_inexact 0
		.amdhsa_exception_int_div_zero 0
	.end_amdhsa_kernel
	.section	.text._Z20warp_exchange_kernelILj256ELj16ELj64EN6common18StripedToBlockedOpEoEvPT3_j,"axG",@progbits,_Z20warp_exchange_kernelILj256ELj16ELj64EN6common18StripedToBlockedOpEoEvPT3_j,comdat
.Lfunc_end133:
	.size	_Z20warp_exchange_kernelILj256ELj16ELj64EN6common18StripedToBlockedOpEoEvPT3_j, .Lfunc_end133-_Z20warp_exchange_kernelILj256ELj16ELj64EN6common18StripedToBlockedOpEoEvPT3_j
                                        ; -- End function
	.section	.AMDGPU.csdata,"",@progbits
; Kernel info:
; codeLenInByte = 1008
; NumSgprs: 11
; NumVgprs: 68
; NumAgprs: 0
; TotalNumVgprs: 68
; ScratchSize: 0
; MemoryBound: 1
; FloatMode: 240
; IeeeMode: 1
; LDSByteSize: 65536 bytes/workgroup (compile time only)
; SGPRBlocks: 1
; VGPRBlocks: 8
; NumSGPRsForWavesPerEU: 11
; NumVGPRsForWavesPerEU: 68
; AccumOffset: 68
; Occupancy: 1
; WaveLimiterHint : 1
; COMPUTE_PGM_RSRC2:SCRATCH_EN: 0
; COMPUTE_PGM_RSRC2:USER_SGPR: 6
; COMPUTE_PGM_RSRC2:TRAP_HANDLER: 0
; COMPUTE_PGM_RSRC2:TGID_X_EN: 1
; COMPUTE_PGM_RSRC2:TGID_Y_EN: 0
; COMPUTE_PGM_RSRC2:TGID_Z_EN: 0
; COMPUTE_PGM_RSRC2:TIDIG_COMP_CNT: 0
; COMPUTE_PGM_RSRC3_GFX90A:ACCUM_OFFSET: 16
; COMPUTE_PGM_RSRC3_GFX90A:TG_SPLIT: 0
	.section	.text._Z20warp_exchange_kernelILj256ELj1ELj64EN6common25BlockedToStripedShuffleOpEoEvPT3_j,"axG",@progbits,_Z20warp_exchange_kernelILj256ELj1ELj64EN6common25BlockedToStripedShuffleOpEoEvPT3_j,comdat
	.protected	_Z20warp_exchange_kernelILj256ELj1ELj64EN6common25BlockedToStripedShuffleOpEoEvPT3_j ; -- Begin function _Z20warp_exchange_kernelILj256ELj1ELj64EN6common25BlockedToStripedShuffleOpEoEvPT3_j
	.globl	_Z20warp_exchange_kernelILj256ELj1ELj64EN6common25BlockedToStripedShuffleOpEoEvPT3_j
	.p2align	8
	.type	_Z20warp_exchange_kernelILj256ELj1ELj64EN6common25BlockedToStripedShuffleOpEoEvPT3_j,@function
_Z20warp_exchange_kernelILj256ELj1ELj64EN6common25BlockedToStripedShuffleOpEoEvPT3_j: ; @_Z20warp_exchange_kernelILj256ELj1ELj64EN6common25BlockedToStripedShuffleOpEoEvPT3_j
; %bb.0:
	s_load_dword s0, s[4:5], 0x8
	v_mov_b32_e32 v5, 0
	s_waitcnt lgkmcnt(0)
	s_cmp_eq_u32 s0, 0
	s_cbranch_scc1 .LBB134_3
; %bb.1:
	v_mbcnt_lo_u32_b32 v1, -1, 0
	v_mbcnt_hi_u32_b32 v1, -1, v1
	v_lshlrev_b32_e32 v1, 2, v1
	v_mov_b32_e32 v2, v0
	v_mov_b32_e32 v3, 0
	v_mov_b32_e32 v4, 0
.LBB134_2:                              ; =>This Inner Loop Header: Depth=1
	s_waitcnt lgkmcnt(3)
	ds_bpermute_b32 v2, v1, v2
	s_waitcnt lgkmcnt(3)
	ds_bpermute_b32 v3, v1, v3
	;; [unrolled: 2-line block ×4, first 2 shown]
	s_add_i32 s0, s0, -1
	s_cmp_lg_u32 s0, 0
	; wave barrier
	s_cbranch_scc1 .LBB134_2
	s_branch .LBB134_4
.LBB134_3:
	v_mov_b32_e32 v2, v0
	v_mov_b32_e32 v3, 0
	;; [unrolled: 1-line block ×3, first 2 shown]
.LBB134_4:
	s_load_dwordx2 s[0:1], s[4:5], 0x0
	v_lshl_or_b32 v0, s6, 8, v0
	v_mov_b32_e32 v1, 0
	v_lshlrev_b64 v[0:1], 4, v[0:1]
	s_waitcnt lgkmcnt(0)
	v_mov_b32_e32 v6, s1
	v_add_co_u32_e32 v0, vcc, s0, v0
	v_addc_co_u32_e32 v1, vcc, v6, v1, vcc
	global_store_dwordx4 v[0:1], v[2:5], off
	s_endpgm
	.section	.rodata,"a",@progbits
	.p2align	6, 0x0
	.amdhsa_kernel _Z20warp_exchange_kernelILj256ELj1ELj64EN6common25BlockedToStripedShuffleOpEoEvPT3_j
		.amdhsa_group_segment_fixed_size 0
		.amdhsa_private_segment_fixed_size 0
		.amdhsa_kernarg_size 12
		.amdhsa_user_sgpr_count 6
		.amdhsa_user_sgpr_private_segment_buffer 1
		.amdhsa_user_sgpr_dispatch_ptr 0
		.amdhsa_user_sgpr_queue_ptr 0
		.amdhsa_user_sgpr_kernarg_segment_ptr 1
		.amdhsa_user_sgpr_dispatch_id 0
		.amdhsa_user_sgpr_flat_scratch_init 0
		.amdhsa_user_sgpr_kernarg_preload_length 0
		.amdhsa_user_sgpr_kernarg_preload_offset 0
		.amdhsa_user_sgpr_private_segment_size 0
		.amdhsa_uses_dynamic_stack 0
		.amdhsa_system_sgpr_private_segment_wavefront_offset 0
		.amdhsa_system_sgpr_workgroup_id_x 1
		.amdhsa_system_sgpr_workgroup_id_y 0
		.amdhsa_system_sgpr_workgroup_id_z 0
		.amdhsa_system_sgpr_workgroup_info 0
		.amdhsa_system_vgpr_workitem_id 0
		.amdhsa_next_free_vgpr 7
		.amdhsa_next_free_sgpr 7
		.amdhsa_accum_offset 8
		.amdhsa_reserve_vcc 1
		.amdhsa_reserve_flat_scratch 0
		.amdhsa_float_round_mode_32 0
		.amdhsa_float_round_mode_16_64 0
		.amdhsa_float_denorm_mode_32 3
		.amdhsa_float_denorm_mode_16_64 3
		.amdhsa_dx10_clamp 1
		.amdhsa_ieee_mode 1
		.amdhsa_fp16_overflow 0
		.amdhsa_tg_split 0
		.amdhsa_exception_fp_ieee_invalid_op 0
		.amdhsa_exception_fp_denorm_src 0
		.amdhsa_exception_fp_ieee_div_zero 0
		.amdhsa_exception_fp_ieee_overflow 0
		.amdhsa_exception_fp_ieee_underflow 0
		.amdhsa_exception_fp_ieee_inexact 0
		.amdhsa_exception_int_div_zero 0
	.end_amdhsa_kernel
	.section	.text._Z20warp_exchange_kernelILj256ELj1ELj64EN6common25BlockedToStripedShuffleOpEoEvPT3_j,"axG",@progbits,_Z20warp_exchange_kernelILj256ELj1ELj64EN6common25BlockedToStripedShuffleOpEoEvPT3_j,comdat
.Lfunc_end134:
	.size	_Z20warp_exchange_kernelILj256ELj1ELj64EN6common25BlockedToStripedShuffleOpEoEvPT3_j, .Lfunc_end134-_Z20warp_exchange_kernelILj256ELj1ELj64EN6common25BlockedToStripedShuffleOpEoEvPT3_j
                                        ; -- End function
	.section	.AMDGPU.csdata,"",@progbits
; Kernel info:
; codeLenInByte = 188
; NumSgprs: 11
; NumVgprs: 7
; NumAgprs: 0
; TotalNumVgprs: 7
; ScratchSize: 0
; MemoryBound: 0
; FloatMode: 240
; IeeeMode: 1
; LDSByteSize: 0 bytes/workgroup (compile time only)
; SGPRBlocks: 1
; VGPRBlocks: 0
; NumSGPRsForWavesPerEU: 11
; NumVGPRsForWavesPerEU: 7
; AccumOffset: 8
; Occupancy: 8
; WaveLimiterHint : 0
; COMPUTE_PGM_RSRC2:SCRATCH_EN: 0
; COMPUTE_PGM_RSRC2:USER_SGPR: 6
; COMPUTE_PGM_RSRC2:TRAP_HANDLER: 0
; COMPUTE_PGM_RSRC2:TGID_X_EN: 1
; COMPUTE_PGM_RSRC2:TGID_Y_EN: 0
; COMPUTE_PGM_RSRC2:TGID_Z_EN: 0
; COMPUTE_PGM_RSRC2:TIDIG_COMP_CNT: 0
; COMPUTE_PGM_RSRC3_GFX90A:ACCUM_OFFSET: 1
; COMPUTE_PGM_RSRC3_GFX90A:TG_SPLIT: 0
	.section	.text._Z20warp_exchange_kernelILj256ELj4ELj64EN6common25BlockedToStripedShuffleOpEoEvPT3_j,"axG",@progbits,_Z20warp_exchange_kernelILj256ELj4ELj64EN6common25BlockedToStripedShuffleOpEoEvPT3_j,comdat
	.protected	_Z20warp_exchange_kernelILj256ELj4ELj64EN6common25BlockedToStripedShuffleOpEoEvPT3_j ; -- Begin function _Z20warp_exchange_kernelILj256ELj4ELj64EN6common25BlockedToStripedShuffleOpEoEvPT3_j
	.globl	_Z20warp_exchange_kernelILj256ELj4ELj64EN6common25BlockedToStripedShuffleOpEoEvPT3_j
	.p2align	8
	.type	_Z20warp_exchange_kernelILj256ELj4ELj64EN6common25BlockedToStripedShuffleOpEoEvPT3_j,@function
_Z20warp_exchange_kernelILj256ELj4ELj64EN6common25BlockedToStripedShuffleOpEoEvPT3_j: ; @_Z20warp_exchange_kernelILj256ELj4ELj64EN6common25BlockedToStripedShuffleOpEoEvPT3_j
; %bb.0:
	s_load_dword s7, s[4:5], 0x8
	v_lshlrev_b32_e32 v16, 2, v0
	v_mov_b32_e32 v17, 0
	v_or_b32_e32 v22, 1, v16
	v_or_b32_e32 v20, 2, v16
	s_waitcnt lgkmcnt(0)
	s_cmp_eq_u32 s7, 0
	v_or_b32_e32 v18, 3, v16
	s_cbranch_scc1 .LBB135_27
; %bb.1:
	v_mbcnt_lo_u32_b32 v0, -1, 0
	v_mbcnt_hi_u32_b32 v0, -1, v0
	v_lshrrev_b32_e32 v1, 2, v0
	v_and_b32_e32 v2, 64, v0
	v_and_b32_e32 v0, 3, v0
	v_or_b32_e32 v3, v1, v2
	v_cmp_eq_u32_e32 vcc, 0, v0
	v_cmp_eq_u32_e64 s[0:1], 1, v0
	v_cmp_eq_u32_e64 s[2:3], 2, v0
	;; [unrolled: 1-line block ×3, first 2 shown]
	v_add_u32_e32 v0, 48, v1
	v_lshlrev_b32_e32 v26, 2, v3
	v_and_or_b32 v0, v0, 63, v2
	v_add_u32_e32 v27, 64, v26
	v_or_b32_e32 v28, 0x80, v26
	v_lshlrev_b32_e32 v29, 2, v0
	v_mov_b32_e32 v30, 0
	v_mov_b32_e32 v31, 0
	;; [unrolled: 1-line block ×12, first 2 shown]
	s_branch .LBB135_3
.LBB135_2:                              ;   in Loop: Header=BB135_3 Depth=1
	s_or_b64 exec, exec, s[10:11]
	s_add_i32 s7, s7, -1
	s_cmp_lg_u32 s7, 0
	s_waitcnt lgkmcnt(3)
	v_mov_b32_e32 v18, v12
	v_mov_b32_e32 v17, v13
	;; [unrolled: 1-line block ×4, first 2 shown]
	s_waitcnt lgkmcnt(1)
	v_mov_b32_e32 v20, v8
	v_mov_b32_e32 v19, v9
	;; [unrolled: 1-line block ×5, first 2 shown]
	s_waitcnt lgkmcnt(0)
	v_mov_b32_e32 v21, v5
	v_mov_b32_e32 v24, v6
	;; [unrolled: 1-line block ×7, first 2 shown]
	; wave barrier
	s_cbranch_scc0 .LBB135_28
.LBB135_3:                              ; =>This Inner Loop Header: Depth=1
	ds_bpermute_b32 v0, v26, v23
	ds_bpermute_b32 v1, v26, v34
	;; [unrolled: 1-line block ×4, first 2 shown]
	s_and_saveexec_b64 s[10:11], vcc
	s_or_b64 exec, exec, s[10:11]
	ds_bpermute_b32 v4, v26, v22
	ds_bpermute_b32 v5, v26, v21
	;; [unrolled: 1-line block ×4, first 2 shown]
	s_and_saveexec_b64 s[10:11], s[0:1]
	s_cbranch_execz .LBB135_5
; %bb.4:                                ;   in Loop: Header=BB135_3 Depth=1
	s_waitcnt lgkmcnt(2)
	v_pk_mov_b32 v[0:1], v[4:5], v[4:5] op_sel:[0,1]
	s_waitcnt lgkmcnt(0)
	v_pk_mov_b32 v[2:3], v[6:7], v[6:7] op_sel:[0,1]
.LBB135_5:                              ;   in Loop: Header=BB135_3 Depth=1
	s_or_b64 exec, exec, s[10:11]
	s_waitcnt lgkmcnt(3)
	ds_bpermute_b32 v4, v26, v20
	s_waitcnt lgkmcnt(3)
	ds_bpermute_b32 v5, v26, v19
	s_waitcnt lgkmcnt(3)
	ds_bpermute_b32 v6, v26, v32
	s_waitcnt lgkmcnt(3)
	ds_bpermute_b32 v7, v26, v33
	s_and_saveexec_b64 s[10:11], s[2:3]
	s_cbranch_execz .LBB135_7
; %bb.6:                                ;   in Loop: Header=BB135_3 Depth=1
	s_waitcnt lgkmcnt(2)
	v_pk_mov_b32 v[0:1], v[4:5], v[4:5] op_sel:[0,1]
	s_waitcnt lgkmcnt(0)
	v_pk_mov_b32 v[2:3], v[6:7], v[6:7] op_sel:[0,1]
.LBB135_7:                              ;   in Loop: Header=BB135_3 Depth=1
	s_or_b64 exec, exec, s[10:11]
	s_waitcnt lgkmcnt(3)
	ds_bpermute_b32 v4, v26, v18
	s_waitcnt lgkmcnt(3)
	ds_bpermute_b32 v5, v26, v17
	s_waitcnt lgkmcnt(3)
	ds_bpermute_b32 v6, v26, v30
	s_waitcnt lgkmcnt(3)
	ds_bpermute_b32 v7, v26, v31
	;; [unrolled: 17-line block ×3, first 2 shown]
	s_and_saveexec_b64 s[10:11], vcc
	s_or_b64 exec, exec, s[10:11]
	ds_bpermute_b32 v8, v27, v22
	ds_bpermute_b32 v9, v27, v21
	;; [unrolled: 1-line block ×4, first 2 shown]
	s_and_saveexec_b64 s[10:11], s[0:1]
	s_cbranch_execz .LBB135_11
; %bb.10:                               ;   in Loop: Header=BB135_3 Depth=1
	s_waitcnt lgkmcnt(2)
	v_pk_mov_b32 v[4:5], v[8:9], v[8:9] op_sel:[0,1]
	s_waitcnt lgkmcnt(0)
	v_pk_mov_b32 v[6:7], v[10:11], v[10:11] op_sel:[0,1]
.LBB135_11:                             ;   in Loop: Header=BB135_3 Depth=1
	s_or_b64 exec, exec, s[10:11]
	s_waitcnt lgkmcnt(3)
	ds_bpermute_b32 v8, v27, v20
	s_waitcnt lgkmcnt(3)
	ds_bpermute_b32 v9, v27, v19
	s_waitcnt lgkmcnt(3)
	ds_bpermute_b32 v10, v27, v32
	s_waitcnt lgkmcnt(3)
	ds_bpermute_b32 v11, v27, v33
	s_and_saveexec_b64 s[10:11], s[2:3]
	s_cbranch_execz .LBB135_13
; %bb.12:                               ;   in Loop: Header=BB135_3 Depth=1
	s_waitcnt lgkmcnt(2)
	v_pk_mov_b32 v[4:5], v[8:9], v[8:9] op_sel:[0,1]
	s_waitcnt lgkmcnt(0)
	v_pk_mov_b32 v[6:7], v[10:11], v[10:11] op_sel:[0,1]
.LBB135_13:                             ;   in Loop: Header=BB135_3 Depth=1
	s_or_b64 exec, exec, s[10:11]
	s_waitcnt lgkmcnt(3)
	ds_bpermute_b32 v8, v27, v18
	s_waitcnt lgkmcnt(3)
	ds_bpermute_b32 v9, v27, v17
	s_waitcnt lgkmcnt(3)
	ds_bpermute_b32 v10, v27, v30
	s_waitcnt lgkmcnt(3)
	ds_bpermute_b32 v11, v27, v31
	;; [unrolled: 17-line block ×3, first 2 shown]
	s_and_saveexec_b64 s[10:11], vcc
	s_or_b64 exec, exec, s[10:11]
	ds_bpermute_b32 v12, v28, v22
	ds_bpermute_b32 v13, v28, v21
	;; [unrolled: 1-line block ×4, first 2 shown]
	s_and_saveexec_b64 s[10:11], s[0:1]
	s_cbranch_execz .LBB135_17
; %bb.16:                               ;   in Loop: Header=BB135_3 Depth=1
	s_waitcnt lgkmcnt(2)
	v_pk_mov_b32 v[8:9], v[12:13], v[12:13] op_sel:[0,1]
	s_waitcnt lgkmcnt(0)
	v_pk_mov_b32 v[10:11], v[14:15], v[14:15] op_sel:[0,1]
.LBB135_17:                             ;   in Loop: Header=BB135_3 Depth=1
	s_or_b64 exec, exec, s[10:11]
	s_waitcnt lgkmcnt(3)
	ds_bpermute_b32 v12, v28, v20
	s_waitcnt lgkmcnt(3)
	ds_bpermute_b32 v13, v28, v19
	s_waitcnt lgkmcnt(3)
	ds_bpermute_b32 v14, v28, v32
	s_waitcnt lgkmcnt(3)
	ds_bpermute_b32 v15, v28, v33
	s_and_saveexec_b64 s[10:11], s[2:3]
	s_cbranch_execz .LBB135_19
; %bb.18:                               ;   in Loop: Header=BB135_3 Depth=1
	s_waitcnt lgkmcnt(2)
	v_pk_mov_b32 v[8:9], v[12:13], v[12:13] op_sel:[0,1]
	s_waitcnt lgkmcnt(0)
	v_pk_mov_b32 v[10:11], v[14:15], v[14:15] op_sel:[0,1]
.LBB135_19:                             ;   in Loop: Header=BB135_3 Depth=1
	s_or_b64 exec, exec, s[10:11]
	s_waitcnt lgkmcnt(3)
	ds_bpermute_b32 v12, v28, v18
	s_waitcnt lgkmcnt(3)
	ds_bpermute_b32 v13, v28, v17
	s_waitcnt lgkmcnt(3)
	ds_bpermute_b32 v14, v28, v30
	s_waitcnt lgkmcnt(3)
	ds_bpermute_b32 v15, v28, v31
	;; [unrolled: 17-line block ×3, first 2 shown]
	s_and_saveexec_b64 s[10:11], vcc
	s_or_b64 exec, exec, s[10:11]
	ds_bpermute_b32 v22, v29, v22
	ds_bpermute_b32 v23, v29, v21
	;; [unrolled: 1-line block ×4, first 2 shown]
	s_and_saveexec_b64 s[10:11], s[0:1]
	s_cbranch_execz .LBB135_23
; %bb.22:                               ;   in Loop: Header=BB135_3 Depth=1
	s_waitcnt lgkmcnt(2)
	v_pk_mov_b32 v[12:13], v[22:23], v[22:23] op_sel:[0,1]
	s_waitcnt lgkmcnt(0)
	v_pk_mov_b32 v[14:15], v[24:25], v[24:25] op_sel:[0,1]
.LBB135_23:                             ;   in Loop: Header=BB135_3 Depth=1
	s_or_b64 exec, exec, s[10:11]
	ds_bpermute_b32 v20, v29, v20
	ds_bpermute_b32 v21, v29, v19
	s_waitcnt lgkmcnt(5)
	ds_bpermute_b32 v22, v29, v32
	s_waitcnt lgkmcnt(5)
	ds_bpermute_b32 v23, v29, v33
	s_and_saveexec_b64 s[10:11], s[2:3]
	s_cbranch_execz .LBB135_25
; %bb.24:                               ;   in Loop: Header=BB135_3 Depth=1
	s_waitcnt lgkmcnt(2)
	v_pk_mov_b32 v[12:13], v[20:21], v[20:21] op_sel:[0,1]
	s_waitcnt lgkmcnt(0)
	v_pk_mov_b32 v[14:15], v[22:23], v[22:23] op_sel:[0,1]
.LBB135_25:                             ;   in Loop: Header=BB135_3 Depth=1
	s_or_b64 exec, exec, s[10:11]
	ds_bpermute_b32 v18, v29, v18
	ds_bpermute_b32 v19, v29, v17
	s_waitcnt lgkmcnt(5)
	ds_bpermute_b32 v20, v29, v30
	s_waitcnt lgkmcnt(5)
	ds_bpermute_b32 v21, v29, v31
	s_and_saveexec_b64 s[10:11], s[8:9]
	s_cbranch_execz .LBB135_2
; %bb.26:                               ;   in Loop: Header=BB135_3 Depth=1
	s_waitcnt lgkmcnt(2)
	v_pk_mov_b32 v[12:13], v[18:19], v[18:19] op_sel:[0,1]
	s_waitcnt lgkmcnt(0)
	v_pk_mov_b32 v[14:15], v[20:21], v[20:21] op_sel:[0,1]
	s_branch .LBB135_2
.LBB135_27:
	v_pk_mov_b32 v[2:3], 0, 0
	v_mov_b32_e32 v23, v17
	v_mov_b32_e32 v21, v17
	;; [unrolled: 1-line block ×3, first 2 shown]
	v_pk_mov_b32 v[14:15], 0, 0
	v_pk_mov_b32 v[0:1], v[16:17], v[16:17] op_sel:[0,1]
	v_pk_mov_b32 v[4:5], v[22:23], v[22:23] op_sel:[0,1]
	;; [unrolled: 1-line block ×6, first 2 shown]
.LBB135_28:
	s_load_dwordx2 s[0:1], s[4:5], 0x0
	v_lshl_or_b32 v16, s6, 10, v16
	v_mov_b32_e32 v17, 0
	v_lshlrev_b64 v[16:17], 4, v[16:17]
	s_waitcnt lgkmcnt(0)
	v_mov_b32_e32 v18, s1
	v_add_co_u32_e32 v16, vcc, s0, v16
	v_addc_co_u32_e32 v17, vcc, v18, v17, vcc
	global_store_dwordx4 v[16:17], v[0:3], off
	global_store_dwordx4 v[16:17], v[4:7], off offset:16
	global_store_dwordx4 v[16:17], v[8:11], off offset:32
	;; [unrolled: 1-line block ×3, first 2 shown]
	s_endpgm
	.section	.rodata,"a",@progbits
	.p2align	6, 0x0
	.amdhsa_kernel _Z20warp_exchange_kernelILj256ELj4ELj64EN6common25BlockedToStripedShuffleOpEoEvPT3_j
		.amdhsa_group_segment_fixed_size 0
		.amdhsa_private_segment_fixed_size 0
		.amdhsa_kernarg_size 12
		.amdhsa_user_sgpr_count 6
		.amdhsa_user_sgpr_private_segment_buffer 1
		.amdhsa_user_sgpr_dispatch_ptr 0
		.amdhsa_user_sgpr_queue_ptr 0
		.amdhsa_user_sgpr_kernarg_segment_ptr 1
		.amdhsa_user_sgpr_dispatch_id 0
		.amdhsa_user_sgpr_flat_scratch_init 0
		.amdhsa_user_sgpr_kernarg_preload_length 0
		.amdhsa_user_sgpr_kernarg_preload_offset 0
		.amdhsa_user_sgpr_private_segment_size 0
		.amdhsa_uses_dynamic_stack 0
		.amdhsa_system_sgpr_private_segment_wavefront_offset 0
		.amdhsa_system_sgpr_workgroup_id_x 1
		.amdhsa_system_sgpr_workgroup_id_y 0
		.amdhsa_system_sgpr_workgroup_id_z 0
		.amdhsa_system_sgpr_workgroup_info 0
		.amdhsa_system_vgpr_workitem_id 0
		.amdhsa_next_free_vgpr 37
		.amdhsa_next_free_sgpr 12
		.amdhsa_accum_offset 40
		.amdhsa_reserve_vcc 1
		.amdhsa_reserve_flat_scratch 0
		.amdhsa_float_round_mode_32 0
		.amdhsa_float_round_mode_16_64 0
		.amdhsa_float_denorm_mode_32 3
		.amdhsa_float_denorm_mode_16_64 3
		.amdhsa_dx10_clamp 1
		.amdhsa_ieee_mode 1
		.amdhsa_fp16_overflow 0
		.amdhsa_tg_split 0
		.amdhsa_exception_fp_ieee_invalid_op 0
		.amdhsa_exception_fp_denorm_src 0
		.amdhsa_exception_fp_ieee_div_zero 0
		.amdhsa_exception_fp_ieee_overflow 0
		.amdhsa_exception_fp_ieee_underflow 0
		.amdhsa_exception_fp_ieee_inexact 0
		.amdhsa_exception_int_div_zero 0
	.end_amdhsa_kernel
	.section	.text._Z20warp_exchange_kernelILj256ELj4ELj64EN6common25BlockedToStripedShuffleOpEoEvPT3_j,"axG",@progbits,_Z20warp_exchange_kernelILj256ELj4ELj64EN6common25BlockedToStripedShuffleOpEoEvPT3_j,comdat
.Lfunc_end135:
	.size	_Z20warp_exchange_kernelILj256ELj4ELj64EN6common25BlockedToStripedShuffleOpEoEvPT3_j, .Lfunc_end135-_Z20warp_exchange_kernelILj256ELj4ELj64EN6common25BlockedToStripedShuffleOpEoEvPT3_j
                                        ; -- End function
	.section	.AMDGPU.csdata,"",@progbits
; Kernel info:
; codeLenInByte = 1568
; NumSgprs: 16
; NumVgprs: 37
; NumAgprs: 0
; TotalNumVgprs: 37
; ScratchSize: 0
; MemoryBound: 0
; FloatMode: 240
; IeeeMode: 1
; LDSByteSize: 0 bytes/workgroup (compile time only)
; SGPRBlocks: 1
; VGPRBlocks: 4
; NumSGPRsForWavesPerEU: 16
; NumVGPRsForWavesPerEU: 37
; AccumOffset: 40
; Occupancy: 8
; WaveLimiterHint : 0
; COMPUTE_PGM_RSRC2:SCRATCH_EN: 0
; COMPUTE_PGM_RSRC2:USER_SGPR: 6
; COMPUTE_PGM_RSRC2:TRAP_HANDLER: 0
; COMPUTE_PGM_RSRC2:TGID_X_EN: 1
; COMPUTE_PGM_RSRC2:TGID_Y_EN: 0
; COMPUTE_PGM_RSRC2:TGID_Z_EN: 0
; COMPUTE_PGM_RSRC2:TIDIG_COMP_CNT: 0
; COMPUTE_PGM_RSRC3_GFX90A:ACCUM_OFFSET: 9
; COMPUTE_PGM_RSRC3_GFX90A:TG_SPLIT: 0
	.section	.text._Z20warp_exchange_kernelILj256ELj16ELj64EN6common25BlockedToStripedShuffleOpEoEvPT3_j,"axG",@progbits,_Z20warp_exchange_kernelILj256ELj16ELj64EN6common25BlockedToStripedShuffleOpEoEvPT3_j,comdat
	.protected	_Z20warp_exchange_kernelILj256ELj16ELj64EN6common25BlockedToStripedShuffleOpEoEvPT3_j ; -- Begin function _Z20warp_exchange_kernelILj256ELj16ELj64EN6common25BlockedToStripedShuffleOpEoEvPT3_j
	.globl	_Z20warp_exchange_kernelILj256ELj16ELj64EN6common25BlockedToStripedShuffleOpEoEvPT3_j
	.p2align	8
	.type	_Z20warp_exchange_kernelILj256ELj16ELj64EN6common25BlockedToStripedShuffleOpEoEvPT3_j,@function
_Z20warp_exchange_kernelILj256ELj16ELj64EN6common25BlockedToStripedShuffleOpEoEvPT3_j: ; @_Z20warp_exchange_kernelILj256ELj16ELj64EN6common25BlockedToStripedShuffleOpEoEvPT3_j
; %bb.0:
	s_load_dword s6, s[4:5], 0x8
	s_add_u32 s0, s0, s9
	s_addc_u32 s1, s1, 0
	v_lshlrev_b32_e32 v64, 4, v0
	v_or_b32_e32 v48, 1, v64
	v_or_b32_e32 v44, 2, v64
	;; [unrolled: 1-line block ×14, first 2 shown]
	s_waitcnt lgkmcnt(0)
	s_cmp_eq_u32 s6, 0
	v_or_b32_e32 v16, 15, v64
	v_mov_b32_e32 v65, 0
	s_cbranch_scc1 .LBB136_4
; %bb.1:
	v_mbcnt_lo_u32_b32 v2, -1, 0
	v_mbcnt_hi_u32_b32 v2, -1, v2
	v_and_b32_e32 v3, 3, v2
	v_mov_b32_e32 v6, 0
	v_lshl_add_u32 v33, v3, 4, v6
	v_add_u32_e32 v7, -1, v2
	v_xor_b32_e32 v3, 2, v3
	v_and_b32_e32 v7, 3, v7
	v_lshl_add_u32 v67, v3, 4, v6
	v_add_u32_e32 v3, 3, v3
	v_lshl_add_u32 v66, v7, 4, v6
	v_and_b32_e32 v7, 3, v3
	v_lshlrev_b32_e32 v3, 4, v3
	v_lshl_add_u32 v68, v7, 4, v6
	v_or_b32_e32 v6, 64, v3
	v_or_b32_e32 v3, 0xc0, v3
	v_add_u32_e32 v69, 0, v6
	v_add_u32_e32 v70, 0, v3
	v_and_b32_e32 v3, 64, v2
	v_add_u32_e32 v6, 60, v2
	v_and_or_b32 v6, v6, 63, v3
	v_lshlrev_b32_e32 v71, 2, v6
	v_add_u32_e32 v6, 56, v2
	v_and_or_b32 v6, v6, 63, v3
	v_lshlrev_b32_e32 v72, 2, v6
	;; [unrolled: 3-line block ×7, first 2 shown]
	v_lshlrev_b32_e32 v6, 2, v2
	v_xor_b32_e32 v78, 0x80, v6
	v_add_u32_e32 v6, 28, v2
	v_and_or_b32 v6, v6, 63, v3
	v_lshlrev_b32_e32 v79, 2, v6
	v_add_u32_e32 v6, 24, v2
	v_and_or_b32 v6, v6, 63, v3
	v_lshlrev_b32_e32 v80, 2, v6
	;; [unrolled: 3-line block ×7, first 2 shown]
	v_lshrrev_b32_e32 v3, 2, v2
	v_add_u32_e32 v7, -1, v3
	v_mov_b32_e32 v6, 0x100
	v_and_b32_e32 v7, 15, v7
	v_lshl_add_u32 v87, v7, 4, v6
	v_add_u32_e32 v7, 14, v3
	v_and_b32_e32 v7, 15, v7
	v_lshl_add_u32 v88, v7, 4, v6
	v_add_u32_e32 v7, 13, v3
	;; [unrolled: 3-line block ×4, first 2 shown]
	v_and_b32_e32 v7, 15, v7
	v_bfe_u32 v2, v2, 2, 4
	v_lshl_add_u32 v91, v7, 4, v6
	v_add_u32_e32 v7, 10, v3
	v_add_u32_e32 v3, 9, v3
	v_lshl_add_u32 v86, v2, 4, v6
	v_and_b32_e32 v3, 15, v3
	v_xor_b32_e32 v2, 8, v2
	v_lshl_add_u32 v93, v3, 4, v6
	v_add_u32_e32 v3, -1, v2
	v_and_b32_e32 v3, 15, v3
	v_lshl_add_u32 v95, v3, 4, v6
	v_add_u32_e32 v3, 14, v2
	v_and_b32_e32 v3, 15, v3
	v_lshl_add_u32 v96, v3, 4, v6
	v_add_u32_e32 v3, 13, v2
	;; [unrolled: 3-line block ×4, first 2 shown]
	v_and_b32_e32 v3, 15, v3
	v_lshl_add_u32 v94, v2, 4, v6
	v_lshl_add_u32 v99, v3, 4, v6
	v_add_u32_e32 v3, 10, v2
	v_add_u32_e32 v2, 9, v2
	v_and_b32_e32 v7, 15, v7
	v_and_b32_e32 v3, 15, v3
	;; [unrolled: 1-line block ×3, first 2 shown]
	v_mov_b32_e32 v17, v65
	v_pk_mov_b32 v[18:19], 0, 0
	v_mov_b32_e32 v25, v65
	v_mov_b32_e32 v53, v65
	;; [unrolled: 1-line block ×6, first 2 shown]
	v_lshl_add_u32 v92, v7, 4, v6
	v_lshl_add_u32 v100, v3, 4, v6
	;; [unrolled: 1-line block ×3, first 2 shown]
	v_pk_mov_b32 v[26:27], 0, 0
	v_pk_mov_b32 v[54:55], 0, 0
	;; [unrolled: 1-line block ×6, first 2 shown]
	v_mov_b32_e32 v13, v65
	v_pk_mov_b32 v[14:15], 0, 0
	v_mov_b32_e32 v29, v65
	v_pk_mov_b32 v[30:31], 0, 0
	v_mov_b32_e32 v34, v65
	v_mov_b32_e32 v35, v65
	;; [unrolled: 1-line block ×6, first 2 shown]
	v_pk_mov_b32 v[58:59], 0, 0
	v_mov_b32_e32 v41, v65
	v_mov_b32_e32 v42, v65
	;; [unrolled: 1-line block ×9, first 2 shown]
	v_pk_mov_b32 v[62:63], 0, 0
	v_pk_mov_b32 v[60:61], v[64:65], v[64:65] op_sel:[0,1]
.LBB136_2:                              ; =>This Inner Loop Header: Depth=1
	s_waitcnt vmcnt(2)
	buffer_store_dword v61, off, s[0:3], 0 offset:4
	buffer_store_dword v60, off, s[0:3], 0
	s_waitcnt vmcnt(2)
	buffer_store_dword v63, off, s[0:3], 0 offset:12
	buffer_store_dword v62, off, s[0:3], 0 offset:8
	s_waitcnt lgkmcnt(14)
	buffer_store_dword v57, off, s[0:3], 0 offset:68
	buffer_store_dword v56, off, s[0:3], 0 offset:64
	;; [unrolled: 1-line block ×4, first 2 shown]
	s_waitcnt lgkmcnt(10)
	buffer_store_dword v53, off, s[0:3], 0 offset:212
	buffer_store_dword v52, off, s[0:3], 0 offset:208
	s_waitcnt lgkmcnt(8)
	buffer_store_dword v55, off, s[0:3], 0 offset:220
	buffer_store_dword v54, off, s[0:3], 0 offset:216
	;; [unrolled: 3-line block ×3, first 2 shown]
	v_mov_b32_dpp v24, v48 quad_perm:[3,0,1,2] row_mask:0xf bank_mask:0xf
	v_mov_b32_dpp v25, v49 quad_perm:[3,0,1,2] row_mask:0xf bank_mask:0xf
	v_mov_b32_dpp v49, v51 quad_perm:[3,0,1,2] row_mask:0xf bank_mask:0xf
	v_mov_b32_dpp v48, v50 quad_perm:[3,0,1,2] row_mask:0xf bank_mask:0xf
	buffer_store_dword v49, off, s[0:3], 0 offset:28
	buffer_store_dword v48, off, s[0:3], 0 offset:24
	buffer_store_dword v25, off, s[0:3], 0 offset:20
	buffer_store_dword v24, off, s[0:3], 0 offset:16
	v_mov_b32_dpp v24, v44 quad_perm:[2,3,0,1] row_mask:0xf bank_mask:0xf
	v_mov_b32_dpp v25, v45 quad_perm:[2,3,0,1] row_mask:0xf bank_mask:0xf
	v_mov_b32_dpp v45, v47 quad_perm:[2,3,0,1] row_mask:0xf bank_mask:0xf
	v_mov_b32_dpp v44, v46 quad_perm:[2,3,0,1] row_mask:0xf bank_mask:0xf
	buffer_store_dword v45, off, s[0:3], 0 offset:44
	buffer_store_dword v44, off, s[0:3], 0 offset:40
	buffer_store_dword v25, off, s[0:3], 0 offset:36
	buffer_store_dword v24, off, s[0:3], 0 offset:32
	;; [unrolled: 8-line block ×5, first 2 shown]
	v_mov_b32_dpp v24, v28 quad_perm:[1,2,3,0] row_mask:0xf bank_mask:0xf
	v_mov_b32_dpp v25, v29 quad_perm:[1,2,3,0] row_mask:0xf bank_mask:0xf
	buffer_load_dword v28, v68, s[0:3], 0 offen offset:4
	v_mov_b32_dpp v29, v30 quad_perm:[1,2,3,0] row_mask:0xf bank_mask:0xf
	v_mov_b32_dpp v30, v31 quad_perm:[1,2,3,0] row_mask:0xf bank_mask:0xf
	buffer_load_dword v31, off, s[0:3], 0 offset:208
	buffer_load_dword v32, off, s[0:3], 0 offset:212
	;; [unrolled: 1-line block ×4, first 2 shown]
	s_nop 0
	buffer_store_dword v25, off, s[0:3], 0 offset:116
	buffer_store_dword v24, off, s[0:3], 0 offset:112
	;; [unrolled: 1-line block ×4, first 2 shown]
	s_waitcnt lgkmcnt(5)
	buffer_store_dword v26, off, s[0:3], 0 offset:232
	buffer_load_dword v24, v69, s[0:3], 0 offen offset:12
	buffer_load_dword v25, off, s[0:3], 0 offset:224
	s_nop 0
	buffer_load_dword v26, off, s[0:3], 0 offset:228
	buffer_load_dword v29, off, s[0:3], 0 offset:232
	v_mov_b32_dpp v9, v9 quad_perm:[3,0,1,2] row_mask:0xf bank_mask:0xf
	s_waitcnt lgkmcnt(4)
	buffer_store_dword v27, off, s[0:3], 0 offset:236
	buffer_load_dword v27, off, s[0:3], 0 offset:236
	s_waitcnt lgkmcnt(0)
	buffer_store_dword v19, off, s[0:3], 0 offset:252
	buffer_store_dword v18, off, s[0:3], 0 offset:248
	buffer_load_dword v30, off, s[0:3], 0 offset:248
	buffer_load_dword v36, off, s[0:3], 0 offset:252
	s_nop 0
	buffer_load_dword v18, v69, s[0:3], 0 offen
	buffer_load_dword v19, v69, s[0:3], 0 offen offset:8
	s_nop 0
	buffer_store_dword v21, off, s[0:3], 0 offset:196
	buffer_store_dword v20, off, s[0:3], 0 offset:192
	;; [unrolled: 1-line block ×6, first 2 shown]
	v_mov_b32_dpp v16, v16 quad_perm:[1,2,3,0] row_mask:0xf bank_mask:0xf
	v_mov_b32_dpp v17, v17 quad_perm:[1,2,3,0] row_mask:0xf bank_mask:0xf
	;; [unrolled: 1-line block ×5, first 2 shown]
	s_add_i32 s6, s6, -1
	s_cmp_eq_u32 s6, 0
	s_waitcnt vmcnt(26)
	v_mov_b32_dpp v21, v31 quad_perm:[3,0,1,2] row_mask:0xf bank_mask:0xf
	v_mov_b32_dpp v20, v28 quad_perm:[3,0,1,2] row_mask:0xf bank_mask:0xf
	buffer_store_dword v20, off, s[0:3], 0 offset:452
	s_waitcnt vmcnt(26)
	v_mov_b32_dpp v22, v32 quad_perm:[3,0,1,2] row_mask:0xf bank_mask:0xf
	s_waitcnt vmcnt(25)
	v_mov_b32_dpp v23, v34 quad_perm:[3,0,1,2] row_mask:0xf bank_mask:0xf
	buffer_load_dword v20, off, s[0:3], 0 offset:452
	s_waitcnt vmcnt(25)
	v_mov_b32_dpp v28, v35 quad_perm:[3,0,1,2] row_mask:0xf bank_mask:0xf
	buffer_store_dword v21, off, s[0:3], 0 offset:208
	buffer_store_dword v22, off, s[0:3], 0 offset:212
	;; [unrolled: 1-line block ×4, first 2 shown]
	s_waitcnt vmcnt(23)
	buffer_store_dword v24, off, s[0:3], 0 offset:476
	s_waitcnt vmcnt(23)
	v_mov_b32_dpp v22, v25 quad_perm:[2,3,0,1] row_mask:0xf bank_mask:0xf
	s_waitcnt vmcnt(22)
	v_mov_b32_dpp v23, v26 quad_perm:[2,3,0,1] row_mask:0xf bank_mask:0xf
	buffer_load_dword v21, off, s[0:3], 0 offset:476
	s_waitcnt vmcnt(22)
	v_mov_b32_dpp v24, v29 quad_perm:[2,3,0,1] row_mask:0xf bank_mask:0xf
	buffer_load_dword v25, v33, s[0:3], 0 offen offset:4
	buffer_load_dword v26, v33, s[0:3], 0 offen offset:68
	buffer_load_dword v28, v66, s[0:3], 0 offen
	buffer_load_dword v29, v66, s[0:3], 0 offen offset:4
	buffer_load_dword v31, v66, s[0:3], 0 offen offset:8
	s_waitcnt vmcnt(25)
	v_mov_b32_dpp v27, v27 quad_perm:[2,3,0,1] row_mask:0xf bank_mask:0xf
	buffer_store_dword v22, off, s[0:3], 0 offset:224
	buffer_store_dword v23, off, s[0:3], 0 offset:228
	;; [unrolled: 1-line block ×4, first 2 shown]
	s_waitcnt vmcnt(25)
	v_mov_b32_dpp v23, v36 quad_perm:[1,2,3,0] row_mask:0xf bank_mask:0xf
	v_mov_b32_dpp v22, v30 quad_perm:[1,2,3,0] row_mask:0xf bank_mask:0xf
	buffer_store_dword v23, off, s[0:3], 0 offset:252
	buffer_store_dword v22, off, s[0:3], 0 offset:248
	buffer_store_dword v17, off, s[0:3], 0 offset:244
	buffer_store_dword v16, off, s[0:3], 0 offset:240
	buffer_store_dword v2, off, s[0:3], 0 offset:184
	buffer_load_dword v16, v67, s[0:3], 0 offen offset:196
	s_nop 0
	buffer_load_dword v2, off, s[0:3], 0 offset:184
	buffer_load_dword v17, v67, s[0:3], 0 offen offset:200
	s_waitcnt vmcnt(17)
	v_mov_b32_dpp v21, v21 quad_perm:[3,0,1,2] row_mask:0xf bank_mask:0xf
	buffer_store_dword v3, off, s[0:3], 0 offset:188
	buffer_load_dword v3, off, s[0:3], 0 offset:188
	s_nop 0
	buffer_store_dword v13, off, s[0:3], 0 offset:132
	buffer_store_dword v12, off, s[0:3], 0 offset:128
	;; [unrolled: 1-line block ×10, first 2 shown]
	v_mov_b32_dpp v4, v4 quad_perm:[2,3,0,1] row_mask:0xf bank_mask:0xf
	v_mov_b32_dpp v5, v5 quad_perm:[2,3,0,1] row_mask:0xf bank_mask:0xf
	;; [unrolled: 1-line block ×5, first 2 shown]
	buffer_store_dword v9, off, s[0:3], 0 offset:148
	buffer_store_dword v8, off, s[0:3], 0 offset:144
	buffer_store_dword v11, off, s[0:3], 0 offset:156
	buffer_store_dword v10, off, s[0:3], 0 offset:152
	buffer_store_dword v7, off, s[0:3], 0 offset:172
	buffer_store_dword v6, off, s[0:3], 0 offset:168
	buffer_store_dword v5, off, s[0:3], 0 offset:164
	buffer_store_dword v4, off, s[0:3], 0 offset:160
	v_mov_b32_dpp v1, v1 quad_perm:[1,2,3,0] row_mask:0xf bank_mask:0xf
	buffer_load_dword v4, v67, s[0:3], 0 offen offset:12
	buffer_load_dword v5, v67, s[0:3], 0 offen offset:64
	;; [unrolled: 1-line block ×5, first 2 shown]
	buffer_load_dword v9, v68, s[0:3], 0 offen
	buffer_load_dword v10, v68, s[0:3], 0 offen offset:12
	buffer_load_dword v11, v69, s[0:3], 0 offen offset:4
	buffer_load_dword v12, v70, s[0:3], 0 offen
	buffer_load_dword v13, v70, s[0:3], 0 offen offset:4
	buffer_load_dword v14, v70, s[0:3], 0 offen offset:8
	s_waitcnt vmcnt(32)
	v_mov_b32_dpp v2, v2 quad_perm:[1,2,3,0] row_mask:0xf bank_mask:0xf
	buffer_store_dword v16, off, s[0:3], 0 offset:436
	s_waitcnt vmcnt(32)
	buffer_store_dword v17, off, s[0:3], 0 offset:440
	buffer_store_dword v0, off, s[0:3], 0 offset:176
	buffer_load_dword v15, off, s[0:3], 0 offset:436
	s_waitcnt vmcnt(33)
	v_mov_b32_dpp v3, v3 quad_perm:[1,2,3,0] row_mask:0xf bank_mask:0xf
	buffer_load_dword v16, off, s[0:3], 0 offset:440
	buffer_load_dword v0, v66, s[0:3], 0 offen offset:192
	buffer_load_dword v17, v66, s[0:3], 0 offen offset:196
	;; [unrolled: 1-line block ×4, first 2 shown]
	s_waitcnt vmcnt(14)
	v_mov_b32_dpp v9, v9 quad_perm:[3,0,1,2] row_mask:0xf bank_mask:0xf
	buffer_store_dword v1, off, s[0:3], 0 offset:180
	buffer_load_dword v1, v67, s[0:3], 0 offen
	s_nop 0
	buffer_load_dword v24, v67, s[0:3], 0 offen offset:4
	buffer_load_dword v27, v67, s[0:3], 0 offen offset:8
	s_nop 0
	buffer_store_dword v2, off, s[0:3], 0 offset:184
	buffer_store_dword v3, off, s[0:3], 0 offset:188
	buffer_load_dword v2, v67, s[0:3], 0 offen offset:136
	s_nop 0
	buffer_load_dword v3, v33, s[0:3], 0 offen offset:64
	buffer_load_dword v30, v67, s[0:3], 0 offen offset:132
	;; [unrolled: 1-line block ×30, first 2 shown]
	buffer_load_dword v61, v33, s[0:3], 0 offen
	buffer_load_dword v62, v33, s[0:3], 0 offen offset:12
	buffer_load_dword v63, v68, s[0:3], 0 offen offset:8
	s_nop 0
	buffer_store_dword v26, off, s[0:3], 0 offset:276
	buffer_store_dword v4, off, s[0:3], 0 offset:396
	;; [unrolled: 1-line block ×6, first 2 shown]
	buffer_load_dword v4, off, s[0:3], 0 offset:400
	s_nop 0
	buffer_load_dword v5, off, s[0:3], 0 offset:404
	buffer_load_dword v6, off, s[0:3], 0 offset:408
	;; [unrolled: 1-line block ×3, first 2 shown]
	s_waitcnt vmcnt(50)
	buffer_store_dword v23, off, s[0:3], 0 offset:380
	buffer_store_dword v22, off, s[0:3], 0 offset:376
	;; [unrolled: 1-line block ×4, first 2 shown]
	s_waitcnt vmcnt(50)
	buffer_store_dword v27, off, s[0:3], 0 offset:392
	buffer_store_dword v24, off, s[0:3], 0 offset:388
	;; [unrolled: 1-line block ×3, first 2 shown]
	s_waitcnt vmcnt(50)
	buffer_store_dword v2, off, s[0:3], 0 offset:424
	buffer_load_dword v0, off, s[0:3], 0 offset:368
	buffer_load_dword v1, off, s[0:3], 0 offset:372
	s_nop 0
	buffer_load_dword v2, off, s[0:3], 0 offset:376
	buffer_load_dword v8, off, s[0:3], 0 offset:380
	;; [unrolled: 1-line block ×7, first 2 shown]
	s_waitcnt vmcnt(59)
	buffer_store_dword v3, off, s[0:3], 0 offset:272
	buffer_store_dword v19, off, s[0:3], 0 offset:472
	;; [unrolled: 1-line block ×3, first 2 shown]
	v_mov_b32_dpp v3, v28 quad_perm:[1,2,3,0] row_mask:0xf bank_mask:0xf
	v_mov_b32_dpp v28, v31 quad_perm:[1,2,3,0] row_mask:0xf bank_mask:0xf
	;; [unrolled: 1-line block ×3, first 2 shown]
	buffer_store_dword v28, off, s[0:3], 0 offset:328
	buffer_store_dword v27, off, s[0:3], 0 offset:324
	;; [unrolled: 1-line block ×4, first 2 shown]
	s_waitcnt vmcnt(62)
	buffer_store_dword v30, off, s[0:3], 0 offset:420
	buffer_load_dword v3, off, s[0:3], 0 offset:420
	s_nop 0
	buffer_store_dword v32, off, s[0:3], 0 offset:508
	buffer_store_dword v34, off, s[0:3], 0 offset:444
	buffer_load_dword v27, off, s[0:3], 0 offset:444
	s_waitcnt vmcnt(62)
	v_mov_b32_dpp v28, v37 quad_perm:[1,2,3,0] row_mask:0xf bank_mask:0xf
	buffer_store_dword v14, off, s[0:3], 0 offset:504
	buffer_store_dword v13, off, s[0:3], 0 offset:500
	;; [unrolled: 1-line block ×5, first 2 shown]
	v_mov_b32_dpp v29, v38 quad_perm:[1,2,3,0] row_mask:0xf bank_mask:0xf
	buffer_store_dword v28, off, s[0:3], 0 offset:332
	buffer_store_dword v29, off, s[0:3], 0 offset:348
	;; [unrolled: 1-line block ×3, first 2 shown]
	s_waitcnt vmcnt(62)
	buffer_store_dword v41, off, s[0:3], 0 offset:296
	buffer_store_dword v42, off, s[0:3], 0 offset:292
	;; [unrolled: 1-line block ×9, first 2 shown]
	s_waitcnt vmcnt(62)
	buffer_store_dword v49, off, s[0:3], 0 offset:432
	buffer_store_dword v51, off, s[0:3], 0 offset:492
	;; [unrolled: 1-line block ×5, first 2 shown]
	buffer_load_dword v37, off, s[0:3], 0 offset:428
	v_mov_b32_dpp v30, v57 quad_perm:[1,2,3,0] row_mask:0xf bank_mask:0xf
	v_mov_b32_dpp v28, v55 quad_perm:[1,2,3,0] row_mask:0xf bank_mask:0xf
	;; [unrolled: 1-line block ×4, first 2 shown]
	s_waitcnt vmcnt(62)
	v_mov_b32_dpp v32, v58 quad_perm:[1,2,3,0] row_mask:0xf bank_mask:0xf
	v_mov_b32_dpp v34, v59 quad_perm:[1,2,3,0] row_mask:0xf bank_mask:0xf
	;; [unrolled: 1-line block ×5, first 2 shown]
	buffer_store_dword v30, off, s[0:3], 0 offset:344
	buffer_store_dword v29, off, s[0:3], 0 offset:340
	;; [unrolled: 1-line block ×9, first 2 shown]
	s_waitcnt vmcnt(61)
	v_mov_b32_dpp v7, v7 quad_perm:[2,3,0,1] row_mask:0xf bank_mask:0xf
	buffer_load_dword v28, off, s[0:3], 0 offset:432
	buffer_load_dword v29, off, s[0:3], 0 offset:416
	v_mov_b32_dpp v4, v4 quad_perm:[2,3,0,1] row_mask:0xf bank_mask:0xf
	v_mov_b32_dpp v5, v5 quad_perm:[2,3,0,1] row_mask:0xf bank_mask:0xf
	;; [unrolled: 1-line block ×3, first 2 shown]
	buffer_store_dword v7, off, s[0:3], 0 offset:412
	buffer_store_dword v6, off, s[0:3], 0 offset:408
	;; [unrolled: 1-line block ×4, first 2 shown]
	buffer_load_dword v4, off, s[0:3], 0 offset:400
	s_nop 0
	buffer_load_dword v5, off, s[0:3], 0 offset:404
	buffer_load_dword v6, off, s[0:3], 0 offset:408
	v_mov_b32_dpp v16, v16 quad_perm:[2,3,0,1] row_mask:0xf bank_mask:0xf
	v_mov_b32_dpp v10, v10 quad_perm:[3,0,1,2] row_mask:0xf bank_mask:0xf
	;; [unrolled: 1-line block ×5, first 2 shown]
	s_waitcnt vmcnt(61)
	v_mov_b32_dpp v0, v0 quad_perm:[1,2,3,0] row_mask:0xf bank_mask:0xf
	s_waitcnt vmcnt(60)
	v_mov_b32_dpp v1, v1 quad_perm:[1,2,3,0] row_mask:0xf bank_mask:0xf
	;; [unrolled: 2-line block ×9, first 2 shown]
	buffer_store_dword v7, off, s[0:3], 0 offset:380
	buffer_store_dword v2, off, s[0:3], 0 offset:376
	;; [unrolled: 1-line block ×9, first 2 shown]
	buffer_load_dword v0, off, s[0:3], 0 offset:424
	buffer_load_dword v1, off, s[0:3], 0 offset:412
	v_mov_b32_dpp v7, v19 quad_perm:[3,0,1,2] row_mask:0xf bank_mask:0xf
	v_mov_b32_dpp v19, v52 quad_perm:[3,0,1,2] row_mask:0xf bank_mask:0xf
	s_waitcnt vmcnt(55)
	v_mov_b32_dpp v2, v3 quad_perm:[2,3,0,1] row_mask:0xf bank_mask:0xf
	buffer_store_dword v2, off, s[0:3], 0 offset:420
	s_waitcnt vmcnt(53)
	v_mov_b32_dpp v3, v27 quad_perm:[2,3,0,1] row_mask:0xf bank_mask:0xf
	v_mov_b32_dpp v2, v15 quad_perm:[2,3,0,1] row_mask:0xf bank_mask:0xf
	buffer_store_dword v3, off, s[0:3], 0 offset:444
	buffer_store_dword v2, off, s[0:3], 0 offset:436
	buffer_load_dword v2, off, s[0:3], 0 offset:492
	v_mov_b32_dpp v3, v63 quad_perm:[3,0,1,2] row_mask:0xf bank_mask:0xf
	buffer_store_dword v3, off, s[0:3], 0 offset:456
	buffer_load_dword v8, v33, s[0:3], 0 offen offset:8
	buffer_load_dword v15, off, s[0:3], 0 offset:508
	v_mov_b32_dpp v3, v18 quad_perm:[3,0,1,2] row_mask:0xf bank_mask:0xf
	buffer_store_dword v7, off, s[0:3], 0 offset:472
	buffer_store_dword v3, off, s[0:3], 0 offset:464
	buffer_load_dword v3, off, s[0:3], 0 offset:272
	s_nop 0
	buffer_load_dword v7, off, s[0:3], 0 offset:276
	buffer_load_dword v17, off, s[0:3], 0 offset:280
	;; [unrolled: 1-line block ×3, first 2 shown]
	s_waitcnt vmcnt(42)
	v_mov_b32_dpp v37, v37 quad_perm:[2,3,0,1] row_mask:0xf bank_mask:0xf
	buffer_store_dword v19, off, s[0:3], 0 offset:480
	buffer_load_dword v19, off, s[0:3], 0 offset:288
	s_nop 0
	buffer_load_dword v22, off, s[0:3], 0 offset:292
	buffer_load_dword v23, off, s[0:3], 0 offset:296
	;; [unrolled: 1-line block ×14, first 2 shown]
	s_waitcnt vmcnt(41)
	ds_bpermute_b32 v5, v79, v5
	buffer_store_dword v37, off, s[0:3], 0 offset:428
	buffer_load_dword v37, off, s[0:3], 0 offset:320
	s_nop 0
	buffer_load_dword v41, off, s[0:3], 0 offset:324
	buffer_load_dword v42, off, s[0:3], 0 offset:328
	;; [unrolled: 1-line block ×4, first 2 shown]
	s_waitcnt vmcnt(46)
	ds_bpermute_b32 v6, v79, v6
	buffer_store_dword v16, off, s[0:3], 0 offset:440
	buffer_load_dword v16, off, s[0:3], 0 offset:336
	s_nop 0
	buffer_load_dword v45, off, s[0:3], 0 offset:340
	buffer_load_dword v46, off, s[0:3], 0 offset:344
	;; [unrolled: 1-line block ×3, first 2 shown]
	s_nop 0
	buffer_store_dword v10, off, s[0:3], 0 offset:460
	buffer_store_dword v9, off, s[0:3], 0 offset:448
	v_mov_b32_dpp v9, v11 quad_perm:[3,0,1,2] row_mask:0xf bank_mask:0xf
	buffer_store_dword v9, off, s[0:3], 0 offset:468
	buffer_load_dword v9, off, s[0:3], 0 offset:352
	s_nop 0
	buffer_load_dword v10, off, s[0:3], 0 offset:356
	buffer_load_dword v11, off, s[0:3], 0 offset:360
	;; [unrolled: 1-line block ×11, first 2 shown]
	s_waitcnt vmcnt(56)
	ds_bpermute_b32 v0, v80, v0
	buffer_store_dword v21, off, s[0:3], 0 offset:476
	v_mov_b32_dpp v21, v53 quad_perm:[3,0,1,2] row_mask:0xf bank_mask:0xf
	buffer_load_dword v53, off, s[0:3], 0 offset:384
	buffer_load_dword v59, off, s[0:3], 0 offset:388
	;; [unrolled: 1-line block ×4, first 2 shown]
	s_nop 0
	buffer_store_dword v50, off, s[0:3], 0 offset:488
	buffer_store_dword v21, off, s[0:3], 0 offset:484
	;; [unrolled: 1-line block ×4, first 2 shown]
	buffer_load_dword v12, off, s[0:3], 0 offset:476
	s_nop 0
	buffer_load_dword v14, off, s[0:3], 0 offset:484
	buffer_load_dword v21, off, s[0:3], 0 offset:496
	buffer_load_dword v50, off, s[0:3], 0 offset:504
	buffer_load_dword v65, off, s[0:3], 0 offset:488
	s_waitcnt vmcnt(62)
	ds_bpermute_b32 v1, v79, v1
	v_mov_b32_dpp v2, v2 quad_perm:[3,0,1,2] row_mask:0xf bank_mask:0xf
	buffer_store_dword v2, off, s[0:3], 0 offset:492
	s_nop 0
	v_mov_b32_dpp v2, v13 quad_perm:[3,0,1,2] row_mask:0xf bank_mask:0xf
	buffer_store_dword v2, off, s[0:3], 0 offset:500
	buffer_load_dword v2, off, s[0:3], 0 offset:492
	s_nop 0
	buffer_load_dword v13, off, s[0:3], 0 offset:500
	v_mov_b32_dpp v15, v15 quad_perm:[3,0,1,2] row_mask:0xf bank_mask:0xf
	buffer_store_dword v15, off, s[0:3], 0 offset:508
	buffer_load_dword v15, off, s[0:3], 0 offset:508
	s_nop 0
	buffer_store_dword v62, off, s[0:3], 0 offset:268
	buffer_store_dword v8, off, s[0:3], 0 offset:264
	;; [unrolled: 1-line block ×3, first 2 shown]
	s_waitcnt vmcnt(62)
	ds_bpermute_b32 v8, v71, v18
	ds_bpermute_b32 v3, v71, v3
	ds_bpermute_b32 v17, v71, v17
	ds_bpermute_b32 v7, v71, v7
	buffer_store_dword v61, off, s[0:3], 0 offset:256
	s_waitcnt lgkmcnt(3)
	buffer_store_dword v8, off, s[0:3], 0 offset:284
	s_waitcnt lgkmcnt(1)
	;; [unrolled: 2-line block ×3, first 2 shown]
	buffer_store_dword v7, off, s[0:3], 0 offset:276
	s_waitcnt vmcnt(62)
	ds_bpermute_b32 v7, v72, v24
	buffer_store_dword v3, off, s[0:3], 0 offset:272
	ds_bpermute_b32 v3, v72, v19
	ds_bpermute_b32 v8, v72, v23
	ds_bpermute_b32 v17, v72, v22
	s_waitcnt lgkmcnt(3)
	buffer_store_dword v7, off, s[0:3], 0 offset:300
	s_waitcnt lgkmcnt(1)
	buffer_store_dword v8, off, s[0:3], 0 offset:296
	s_waitcnt lgkmcnt(0)
	buffer_store_dword v17, off, s[0:3], 0 offset:292
	s_waitcnt vmcnt(62)
	ds_bpermute_b32 v7, v73, v31
	buffer_store_dword v3, off, s[0:3], 0 offset:288
	ds_bpermute_b32 v3, v73, v26
	ds_bpermute_b32 v8, v73, v30
	ds_bpermute_b32 v17, v73, v27
	s_waitcnt lgkmcnt(3)
	buffer_store_dword v7, off, s[0:3], 0 offset:316
	s_waitcnt lgkmcnt(1)
	buffer_store_dword v8, off, s[0:3], 0 offset:312
	s_waitcnt lgkmcnt(0)
	;; [unrolled: 12-line block ×6, first 2 shown]
	buffer_store_dword v9, off, s[0:3], 0 offset:372
	buffer_store_dword v3, off, s[0:3], 0 offset:368
	s_waitcnt vmcnt(50)
	ds_bpermute_b32 v3, v78, v53
	s_waitcnt vmcnt(49)
	ds_bpermute_b32 v9, v78, v59
	;; [unrolled: 2-line block ×4, first 2 shown]
	s_waitcnt lgkmcnt(0)
	buffer_store_dword v7, off, s[0:3], 0 offset:396
	buffer_store_dword v8, off, s[0:3], 0 offset:392
	;; [unrolled: 1-line block ×4, first 2 shown]
	ds_bpermute_b32 v3, v79, v4
	buffer_store_dword v1, off, s[0:3], 0 offset:412
	buffer_store_dword v6, off, s[0:3], 0 offset:408
	;; [unrolled: 1-line block ×3, first 2 shown]
	ds_bpermute_b32 v1, v80, v44
	ds_bpermute_b32 v4, v80, v40
	s_waitcnt lgkmcnt(2)
	buffer_store_dword v3, off, s[0:3], 0 offset:400
	ds_bpermute_b32 v3, v80, v29
	s_waitcnt lgkmcnt(2)
	buffer_store_dword v1, off, s[0:3], 0 offset:428
	buffer_store_dword v0, off, s[0:3], 0 offset:424
	s_waitcnt lgkmcnt(1)
	buffer_store_dword v4, off, s[0:3], 0 offset:420
	ds_bpermute_b32 v0, v81, v34
	ds_bpermute_b32 v1, v81, v49
	;; [unrolled: 1-line block ×3, first 2 shown]
	s_waitcnt lgkmcnt(3)
	buffer_store_dword v3, off, s[0:3], 0 offset:416
	ds_bpermute_b32 v3, v81, v28
	s_waitcnt lgkmcnt(3)
	buffer_store_dword v0, off, s[0:3], 0 offset:444
	s_waitcnt lgkmcnt(2)
	buffer_store_dword v1, off, s[0:3], 0 offset:440
	;; [unrolled: 2-line block ×3, first 2 shown]
	ds_bpermute_b32 v0, v82, v52
	ds_bpermute_b32 v1, v82, v35
	ds_bpermute_b32 v4, v82, v20
	s_waitcnt lgkmcnt(3)
	buffer_store_dword v3, off, s[0:3], 0 offset:432
	ds_bpermute_b32 v3, v82, v51
	s_waitcnt lgkmcnt(3)
	buffer_store_dword v0, off, s[0:3], 0 offset:460
	s_waitcnt lgkmcnt(2)
	buffer_store_dword v1, off, s[0:3], 0 offset:456
	s_waitcnt lgkmcnt(1)
	buffer_store_dword v4, off, s[0:3], 0 offset:452
	s_waitcnt vmcnt(61)
	ds_bpermute_b32 v0, v83, v12
	ds_bpermute_b32 v1, v83, v38
	ds_bpermute_b32 v4, v83, v54
	s_waitcnt lgkmcnt(3)
	buffer_store_dword v3, off, s[0:3], 0 offset:448
	ds_bpermute_b32 v3, v83, v36
	s_waitcnt lgkmcnt(3)
	buffer_store_dword v0, off, s[0:3], 0 offset:476
	s_waitcnt lgkmcnt(2)
	buffer_store_dword v1, off, s[0:3], 0 offset:472
	s_waitcnt lgkmcnt(1)
	buffer_store_dword v4, off, s[0:3], 0 offset:468
	s_waitcnt vmcnt(58)
	;; [unrolled: 13-line block ×3, first 2 shown]
	ds_bpermute_b32 v0, v85, v15
	ds_bpermute_b32 v1, v85, v50
	;; [unrolled: 1-line block ×4, first 2 shown]
	s_waitcnt lgkmcnt(4)
	buffer_store_dword v3, off, s[0:3], 0 offset:480
	s_waitcnt lgkmcnt(3)
	buffer_store_dword v0, off, s[0:3], 0 offset:508
	;; [unrolled: 2-line block ×5, first 2 shown]
	buffer_load_dword v0, v87, s[0:3], 0 offen
	buffer_load_dword v1, v87, s[0:3], 0 offen offset:4
	buffer_load_dword v2, v87, s[0:3], 0 offen offset:8
	;; [unrolled: 1-line block ×3, first 2 shown]
	s_nop 0
	buffer_load_dword v4, v88, s[0:3], 0 offen
	buffer_load_dword v5, v88, s[0:3], 0 offen offset:4
	buffer_load_dword v6, v88, s[0:3], 0 offen offset:8
	buffer_load_dword v7, v88, s[0:3], 0 offen offset:12
	buffer_load_dword v8, v89, s[0:3], 0 offen
	buffer_load_dword v9, v89, s[0:3], 0 offen offset:4
	buffer_load_dword v10, v89, s[0:3], 0 offen offset:8
	buffer_load_dword v11, v89, s[0:3], 0 offen offset:12
	;; [unrolled: 4-line block ×15, first 2 shown]
	; wave barrier
	s_waitcnt vmcnt(62)
	ds_bpermute_b32 v48, v85, v0
	ds_bpermute_b32 v49, v85, v1
	s_waitcnt vmcnt(61)
	ds_bpermute_b32 v50, v85, v2
	s_waitcnt vmcnt(60)
	;; [unrolled: 2-line block ×58, first 2 shown]
	ds_bpermute_b32 v19, v71, v129
	s_cbranch_scc0 .LBB136_2
; %bb.3:
	s_waitcnt lgkmcnt(14)
	v_mov_b32_e32 v33, v65
	s_branch .LBB136_5
.LBB136_4:
	v_pk_mov_b32 v[18:19], 0, 0
	v_pk_mov_b32 v[62:63], 0, 0
	v_mov_b32_e32 v49, v65
	v_mov_b32_e32 v45, v65
	;; [unrolled: 1-line block ×13, first 2 shown]
	v_pk_mov_b32 v[60:61], v[64:65], v[64:65] op_sel:[0,1]
	v_pk_mov_b32 v[50:51], 0, 0
	v_pk_mov_b32 v[46:47], 0, 0
	;; [unrolled: 1-line block ×12, first 2 shown]
	v_mov_b32_e32 v53, v65
	v_pk_mov_b32 v[54:55], 0, 0
	v_mov_b32_e32 v25, v65
	v_pk_mov_b32 v[26:27], 0, 0
.LBB136_5:
	s_load_dwordx2 s[4:5], s[4:5], 0x0
	v_lshl_or_b32 v64, s8, 12, v64
	v_mov_b32_e32 v65, 0
	v_lshlrev_b64 v[64:65], 4, v[64:65]
	s_waitcnt lgkmcnt(0)
	v_mov_b32_e32 v66, s5
	v_add_co_u32_e32 v64, vcc, s4, v64
	v_addc_co_u32_e32 v65, vcc, v66, v65, vcc
	s_waitcnt vmcnt(0)
	global_store_dwordx4 v[64:65], v[60:63], off
	global_store_dwordx4 v[64:65], v[48:51], off offset:16
	global_store_dwordx4 v[64:65], v[44:47], off offset:32
	;; [unrolled: 1-line block ×15, first 2 shown]
	s_endpgm
	.section	.rodata,"a",@progbits
	.p2align	6, 0x0
	.amdhsa_kernel _Z20warp_exchange_kernelILj256ELj16ELj64EN6common25BlockedToStripedShuffleOpEoEvPT3_j
		.amdhsa_group_segment_fixed_size 0
		.amdhsa_private_segment_fixed_size 528
		.amdhsa_kernarg_size 12
		.amdhsa_user_sgpr_count 8
		.amdhsa_user_sgpr_private_segment_buffer 1
		.amdhsa_user_sgpr_dispatch_ptr 0
		.amdhsa_user_sgpr_queue_ptr 0
		.amdhsa_user_sgpr_kernarg_segment_ptr 1
		.amdhsa_user_sgpr_dispatch_id 0
		.amdhsa_user_sgpr_flat_scratch_init 1
		.amdhsa_user_sgpr_kernarg_preload_length 0
		.amdhsa_user_sgpr_kernarg_preload_offset 0
		.amdhsa_user_sgpr_private_segment_size 0
		.amdhsa_uses_dynamic_stack 0
		.amdhsa_system_sgpr_private_segment_wavefront_offset 1
		.amdhsa_system_sgpr_workgroup_id_x 1
		.amdhsa_system_sgpr_workgroup_id_y 0
		.amdhsa_system_sgpr_workgroup_id_z 0
		.amdhsa_system_sgpr_workgroup_info 0
		.amdhsa_system_vgpr_workitem_id 0
		.amdhsa_next_free_vgpr 130
		.amdhsa_next_free_sgpr 10
		.amdhsa_accum_offset 132
		.amdhsa_reserve_vcc 1
		.amdhsa_reserve_flat_scratch 0
		.amdhsa_float_round_mode_32 0
		.amdhsa_float_round_mode_16_64 0
		.amdhsa_float_denorm_mode_32 3
		.amdhsa_float_denorm_mode_16_64 3
		.amdhsa_dx10_clamp 1
		.amdhsa_ieee_mode 1
		.amdhsa_fp16_overflow 0
		.amdhsa_tg_split 0
		.amdhsa_exception_fp_ieee_invalid_op 0
		.amdhsa_exception_fp_denorm_src 0
		.amdhsa_exception_fp_ieee_div_zero 0
		.amdhsa_exception_fp_ieee_overflow 0
		.amdhsa_exception_fp_ieee_underflow 0
		.amdhsa_exception_fp_ieee_inexact 0
		.amdhsa_exception_int_div_zero 0
	.end_amdhsa_kernel
	.section	.text._Z20warp_exchange_kernelILj256ELj16ELj64EN6common25BlockedToStripedShuffleOpEoEvPT3_j,"axG",@progbits,_Z20warp_exchange_kernelILj256ELj16ELj64EN6common25BlockedToStripedShuffleOpEoEvPT3_j,comdat
.Lfunc_end136:
	.size	_Z20warp_exchange_kernelILj256ELj16ELj64EN6common25BlockedToStripedShuffleOpEoEvPT3_j, .Lfunc_end136-_Z20warp_exchange_kernelILj256ELj16ELj64EN6common25BlockedToStripedShuffleOpEoEvPT3_j
                                        ; -- End function
	.section	.AMDGPU.csdata,"",@progbits
; Kernel info:
; codeLenInByte = 7488
; NumSgprs: 14
; NumVgprs: 130
; NumAgprs: 0
; TotalNumVgprs: 130
; ScratchSize: 528
; MemoryBound: 0
; FloatMode: 240
; IeeeMode: 1
; LDSByteSize: 0 bytes/workgroup (compile time only)
; SGPRBlocks: 1
; VGPRBlocks: 16
; NumSGPRsForWavesPerEU: 14
; NumVGPRsForWavesPerEU: 130
; AccumOffset: 132
; Occupancy: 3
; WaveLimiterHint : 1
; COMPUTE_PGM_RSRC2:SCRATCH_EN: 1
; COMPUTE_PGM_RSRC2:USER_SGPR: 8
; COMPUTE_PGM_RSRC2:TRAP_HANDLER: 0
; COMPUTE_PGM_RSRC2:TGID_X_EN: 1
; COMPUTE_PGM_RSRC2:TGID_Y_EN: 0
; COMPUTE_PGM_RSRC2:TGID_Z_EN: 0
; COMPUTE_PGM_RSRC2:TIDIG_COMP_CNT: 0
; COMPUTE_PGM_RSRC3_GFX90A:ACCUM_OFFSET: 32
; COMPUTE_PGM_RSRC3_GFX90A:TG_SPLIT: 0
	.section	.text._Z20warp_exchange_kernelILj256ELj1ELj64EN6common25StripedToBlockedShuffleOpEoEvPT3_j,"axG",@progbits,_Z20warp_exchange_kernelILj256ELj1ELj64EN6common25StripedToBlockedShuffleOpEoEvPT3_j,comdat
	.protected	_Z20warp_exchange_kernelILj256ELj1ELj64EN6common25StripedToBlockedShuffleOpEoEvPT3_j ; -- Begin function _Z20warp_exchange_kernelILj256ELj1ELj64EN6common25StripedToBlockedShuffleOpEoEvPT3_j
	.globl	_Z20warp_exchange_kernelILj256ELj1ELj64EN6common25StripedToBlockedShuffleOpEoEvPT3_j
	.p2align	8
	.type	_Z20warp_exchange_kernelILj256ELj1ELj64EN6common25StripedToBlockedShuffleOpEoEvPT3_j,@function
_Z20warp_exchange_kernelILj256ELj1ELj64EN6common25StripedToBlockedShuffleOpEoEvPT3_j: ; @_Z20warp_exchange_kernelILj256ELj1ELj64EN6common25StripedToBlockedShuffleOpEoEvPT3_j
; %bb.0:
	s_load_dword s0, s[4:5], 0x8
	v_mov_b32_e32 v5, 0
	s_waitcnt lgkmcnt(0)
	s_cmp_eq_u32 s0, 0
	s_cbranch_scc1 .LBB137_3
; %bb.1:
	v_mbcnt_lo_u32_b32 v1, -1, 0
	v_mbcnt_hi_u32_b32 v1, -1, v1
	v_lshlrev_b32_e32 v1, 2, v1
	v_mov_b32_e32 v2, v0
	v_mov_b32_e32 v3, 0
	;; [unrolled: 1-line block ×3, first 2 shown]
.LBB137_2:                              ; =>This Inner Loop Header: Depth=1
	s_waitcnt lgkmcnt(3)
	ds_bpermute_b32 v2, v1, v2
	s_waitcnt lgkmcnt(3)
	ds_bpermute_b32 v3, v1, v3
	;; [unrolled: 2-line block ×4, first 2 shown]
	s_add_i32 s0, s0, -1
	s_cmp_lg_u32 s0, 0
	; wave barrier
	s_cbranch_scc1 .LBB137_2
	s_branch .LBB137_4
.LBB137_3:
	v_mov_b32_e32 v2, v0
	v_mov_b32_e32 v3, 0
	;; [unrolled: 1-line block ×3, first 2 shown]
.LBB137_4:
	s_load_dwordx2 s[0:1], s[4:5], 0x0
	v_lshl_or_b32 v0, s6, 8, v0
	v_mov_b32_e32 v1, 0
	v_lshlrev_b64 v[0:1], 4, v[0:1]
	s_waitcnt lgkmcnt(0)
	v_mov_b32_e32 v6, s1
	v_add_co_u32_e32 v0, vcc, s0, v0
	v_addc_co_u32_e32 v1, vcc, v6, v1, vcc
	global_store_dwordx4 v[0:1], v[2:5], off
	s_endpgm
	.section	.rodata,"a",@progbits
	.p2align	6, 0x0
	.amdhsa_kernel _Z20warp_exchange_kernelILj256ELj1ELj64EN6common25StripedToBlockedShuffleOpEoEvPT3_j
		.amdhsa_group_segment_fixed_size 0
		.amdhsa_private_segment_fixed_size 0
		.amdhsa_kernarg_size 12
		.amdhsa_user_sgpr_count 6
		.amdhsa_user_sgpr_private_segment_buffer 1
		.amdhsa_user_sgpr_dispatch_ptr 0
		.amdhsa_user_sgpr_queue_ptr 0
		.amdhsa_user_sgpr_kernarg_segment_ptr 1
		.amdhsa_user_sgpr_dispatch_id 0
		.amdhsa_user_sgpr_flat_scratch_init 0
		.amdhsa_user_sgpr_kernarg_preload_length 0
		.amdhsa_user_sgpr_kernarg_preload_offset 0
		.amdhsa_user_sgpr_private_segment_size 0
		.amdhsa_uses_dynamic_stack 0
		.amdhsa_system_sgpr_private_segment_wavefront_offset 0
		.amdhsa_system_sgpr_workgroup_id_x 1
		.amdhsa_system_sgpr_workgroup_id_y 0
		.amdhsa_system_sgpr_workgroup_id_z 0
		.amdhsa_system_sgpr_workgroup_info 0
		.amdhsa_system_vgpr_workitem_id 0
		.amdhsa_next_free_vgpr 7
		.amdhsa_next_free_sgpr 7
		.amdhsa_accum_offset 8
		.amdhsa_reserve_vcc 1
		.amdhsa_reserve_flat_scratch 0
		.amdhsa_float_round_mode_32 0
		.amdhsa_float_round_mode_16_64 0
		.amdhsa_float_denorm_mode_32 3
		.amdhsa_float_denorm_mode_16_64 3
		.amdhsa_dx10_clamp 1
		.amdhsa_ieee_mode 1
		.amdhsa_fp16_overflow 0
		.amdhsa_tg_split 0
		.amdhsa_exception_fp_ieee_invalid_op 0
		.amdhsa_exception_fp_denorm_src 0
		.amdhsa_exception_fp_ieee_div_zero 0
		.amdhsa_exception_fp_ieee_overflow 0
		.amdhsa_exception_fp_ieee_underflow 0
		.amdhsa_exception_fp_ieee_inexact 0
		.amdhsa_exception_int_div_zero 0
	.end_amdhsa_kernel
	.section	.text._Z20warp_exchange_kernelILj256ELj1ELj64EN6common25StripedToBlockedShuffleOpEoEvPT3_j,"axG",@progbits,_Z20warp_exchange_kernelILj256ELj1ELj64EN6common25StripedToBlockedShuffleOpEoEvPT3_j,comdat
.Lfunc_end137:
	.size	_Z20warp_exchange_kernelILj256ELj1ELj64EN6common25StripedToBlockedShuffleOpEoEvPT3_j, .Lfunc_end137-_Z20warp_exchange_kernelILj256ELj1ELj64EN6common25StripedToBlockedShuffleOpEoEvPT3_j
                                        ; -- End function
	.section	.AMDGPU.csdata,"",@progbits
; Kernel info:
; codeLenInByte = 188
; NumSgprs: 11
; NumVgprs: 7
; NumAgprs: 0
; TotalNumVgprs: 7
; ScratchSize: 0
; MemoryBound: 0
; FloatMode: 240
; IeeeMode: 1
; LDSByteSize: 0 bytes/workgroup (compile time only)
; SGPRBlocks: 1
; VGPRBlocks: 0
; NumSGPRsForWavesPerEU: 11
; NumVGPRsForWavesPerEU: 7
; AccumOffset: 8
; Occupancy: 8
; WaveLimiterHint : 0
; COMPUTE_PGM_RSRC2:SCRATCH_EN: 0
; COMPUTE_PGM_RSRC2:USER_SGPR: 6
; COMPUTE_PGM_RSRC2:TRAP_HANDLER: 0
; COMPUTE_PGM_RSRC2:TGID_X_EN: 1
; COMPUTE_PGM_RSRC2:TGID_Y_EN: 0
; COMPUTE_PGM_RSRC2:TGID_Z_EN: 0
; COMPUTE_PGM_RSRC2:TIDIG_COMP_CNT: 0
; COMPUTE_PGM_RSRC3_GFX90A:ACCUM_OFFSET: 1
; COMPUTE_PGM_RSRC3_GFX90A:TG_SPLIT: 0
	.section	.text._Z20warp_exchange_kernelILj256ELj4ELj64EN6common25StripedToBlockedShuffleOpEoEvPT3_j,"axG",@progbits,_Z20warp_exchange_kernelILj256ELj4ELj64EN6common25StripedToBlockedShuffleOpEoEvPT3_j,comdat
	.protected	_Z20warp_exchange_kernelILj256ELj4ELj64EN6common25StripedToBlockedShuffleOpEoEvPT3_j ; -- Begin function _Z20warp_exchange_kernelILj256ELj4ELj64EN6common25StripedToBlockedShuffleOpEoEvPT3_j
	.globl	_Z20warp_exchange_kernelILj256ELj4ELj64EN6common25StripedToBlockedShuffleOpEoEvPT3_j
	.p2align	8
	.type	_Z20warp_exchange_kernelILj256ELj4ELj64EN6common25StripedToBlockedShuffleOpEoEvPT3_j,@function
_Z20warp_exchange_kernelILj256ELj4ELj64EN6common25StripedToBlockedShuffleOpEoEvPT3_j: ; @_Z20warp_exchange_kernelILj256ELj4ELj64EN6common25StripedToBlockedShuffleOpEoEvPT3_j
; %bb.0:
	s_load_dword s7, s[4:5], 0x8
	v_lshlrev_b32_e32 v16, 2, v0
	v_mov_b32_e32 v17, 0
	v_or_b32_e32 v22, 1, v16
	v_or_b32_e32 v20, 2, v16
	s_waitcnt lgkmcnt(0)
	s_cmp_eq_u32 s7, 0
	v_or_b32_e32 v18, 3, v16
	s_cbranch_scc1 .LBB138_27
; %bb.1:
	v_mbcnt_lo_u32_b32 v0, -1, 0
	v_mbcnt_hi_u32_b32 v0, -1, v0
	v_lshlrev_b32_e32 v1, 2, v0
	v_and_b32_e32 v2, 64, v0
	v_and_or_b32 v1, v1, 60, v2
	v_lshrrev_b32_e32 v2, 4, v0
	v_lshlrev_b32_e32 v26, 2, v1
	v_cmp_gt_u32_e32 vcc, 16, v0
	v_cmp_eq_u32_e64 s[0:1], 1, v2
	v_cmp_eq_u32_e64 s[2:3], 2, v2
	;; [unrolled: 1-line block ×3, first 2 shown]
	v_or_b32_e32 v27, 4, v26
	v_or_b32_e32 v28, 8, v26
	;; [unrolled: 1-line block ×3, first 2 shown]
	v_mov_b32_e32 v30, 0
	v_mov_b32_e32 v31, 0
	;; [unrolled: 1-line block ×12, first 2 shown]
	s_branch .LBB138_3
.LBB138_2:                              ;   in Loop: Header=BB138_3 Depth=1
	s_or_b64 exec, exec, s[10:11]
	s_add_i32 s7, s7, -1
	s_cmp_lg_u32 s7, 0
	s_waitcnt lgkmcnt(3)
	v_mov_b32_e32 v18, v12
	v_mov_b32_e32 v17, v13
	;; [unrolled: 1-line block ×4, first 2 shown]
	s_waitcnt lgkmcnt(1)
	v_mov_b32_e32 v20, v8
	v_mov_b32_e32 v19, v9
	;; [unrolled: 1-line block ×5, first 2 shown]
	s_waitcnt lgkmcnt(0)
	v_mov_b32_e32 v21, v5
	v_mov_b32_e32 v24, v6
	;; [unrolled: 1-line block ×7, first 2 shown]
	; wave barrier
	s_cbranch_scc0 .LBB138_28
.LBB138_3:                              ; =>This Inner Loop Header: Depth=1
	ds_bpermute_b32 v0, v26, v23
	ds_bpermute_b32 v1, v26, v34
	;; [unrolled: 1-line block ×4, first 2 shown]
	s_and_saveexec_b64 s[10:11], vcc
	s_or_b64 exec, exec, s[10:11]
	ds_bpermute_b32 v4, v26, v22
	ds_bpermute_b32 v5, v26, v21
	;; [unrolled: 1-line block ×4, first 2 shown]
	s_and_saveexec_b64 s[10:11], s[0:1]
	s_cbranch_execz .LBB138_5
; %bb.4:                                ;   in Loop: Header=BB138_3 Depth=1
	s_waitcnt lgkmcnt(2)
	v_pk_mov_b32 v[0:1], v[4:5], v[4:5] op_sel:[0,1]
	s_waitcnt lgkmcnt(0)
	v_pk_mov_b32 v[2:3], v[6:7], v[6:7] op_sel:[0,1]
.LBB138_5:                              ;   in Loop: Header=BB138_3 Depth=1
	s_or_b64 exec, exec, s[10:11]
	s_waitcnt lgkmcnt(3)
	ds_bpermute_b32 v4, v26, v20
	s_waitcnt lgkmcnt(3)
	ds_bpermute_b32 v5, v26, v19
	s_waitcnt lgkmcnt(3)
	ds_bpermute_b32 v6, v26, v32
	s_waitcnt lgkmcnt(3)
	ds_bpermute_b32 v7, v26, v33
	s_and_saveexec_b64 s[10:11], s[2:3]
	s_cbranch_execz .LBB138_7
; %bb.6:                                ;   in Loop: Header=BB138_3 Depth=1
	s_waitcnt lgkmcnt(2)
	v_pk_mov_b32 v[0:1], v[4:5], v[4:5] op_sel:[0,1]
	s_waitcnt lgkmcnt(0)
	v_pk_mov_b32 v[2:3], v[6:7], v[6:7] op_sel:[0,1]
.LBB138_7:                              ;   in Loop: Header=BB138_3 Depth=1
	s_or_b64 exec, exec, s[10:11]
	s_waitcnt lgkmcnt(3)
	ds_bpermute_b32 v4, v26, v18
	s_waitcnt lgkmcnt(3)
	ds_bpermute_b32 v5, v26, v17
	s_waitcnt lgkmcnt(3)
	ds_bpermute_b32 v6, v26, v30
	s_waitcnt lgkmcnt(3)
	ds_bpermute_b32 v7, v26, v31
	;; [unrolled: 17-line block ×3, first 2 shown]
	s_and_saveexec_b64 s[10:11], vcc
	s_or_b64 exec, exec, s[10:11]
	ds_bpermute_b32 v8, v27, v22
	ds_bpermute_b32 v9, v27, v21
	;; [unrolled: 1-line block ×4, first 2 shown]
	s_and_saveexec_b64 s[10:11], s[0:1]
	s_cbranch_execz .LBB138_11
; %bb.10:                               ;   in Loop: Header=BB138_3 Depth=1
	s_waitcnt lgkmcnt(2)
	v_pk_mov_b32 v[4:5], v[8:9], v[8:9] op_sel:[0,1]
	s_waitcnt lgkmcnt(0)
	v_pk_mov_b32 v[6:7], v[10:11], v[10:11] op_sel:[0,1]
.LBB138_11:                             ;   in Loop: Header=BB138_3 Depth=1
	s_or_b64 exec, exec, s[10:11]
	s_waitcnt lgkmcnt(3)
	ds_bpermute_b32 v8, v27, v20
	s_waitcnt lgkmcnt(3)
	ds_bpermute_b32 v9, v27, v19
	s_waitcnt lgkmcnt(3)
	ds_bpermute_b32 v10, v27, v32
	s_waitcnt lgkmcnt(3)
	ds_bpermute_b32 v11, v27, v33
	s_and_saveexec_b64 s[10:11], s[2:3]
	s_cbranch_execz .LBB138_13
; %bb.12:                               ;   in Loop: Header=BB138_3 Depth=1
	s_waitcnt lgkmcnt(2)
	v_pk_mov_b32 v[4:5], v[8:9], v[8:9] op_sel:[0,1]
	s_waitcnt lgkmcnt(0)
	v_pk_mov_b32 v[6:7], v[10:11], v[10:11] op_sel:[0,1]
.LBB138_13:                             ;   in Loop: Header=BB138_3 Depth=1
	s_or_b64 exec, exec, s[10:11]
	s_waitcnt lgkmcnt(3)
	ds_bpermute_b32 v8, v27, v18
	s_waitcnt lgkmcnt(3)
	ds_bpermute_b32 v9, v27, v17
	s_waitcnt lgkmcnt(3)
	ds_bpermute_b32 v10, v27, v30
	s_waitcnt lgkmcnt(3)
	ds_bpermute_b32 v11, v27, v31
	s_and_saveexec_b64 s[10:11], s[8:9]
	s_cbranch_execz .LBB138_15
; %bb.14:                               ;   in Loop: Header=BB138_3 Depth=1
	s_waitcnt lgkmcnt(2)
	v_pk_mov_b32 v[4:5], v[8:9], v[8:9] op_sel:[0,1]
	s_waitcnt lgkmcnt(0)
	v_pk_mov_b32 v[6:7], v[10:11], v[10:11] op_sel:[0,1]
.LBB138_15:                             ;   in Loop: Header=BB138_3 Depth=1
	s_or_b64 exec, exec, s[10:11]
	s_waitcnt lgkmcnt(3)
	ds_bpermute_b32 v8, v28, v23
	s_waitcnt lgkmcnt(3)
	ds_bpermute_b32 v9, v28, v34
	s_waitcnt lgkmcnt(3)
	ds_bpermute_b32 v10, v28, v35
	s_waitcnt lgkmcnt(3)
	ds_bpermute_b32 v11, v28, v36
	s_and_saveexec_b64 s[10:11], vcc
	s_or_b64 exec, exec, s[10:11]
	ds_bpermute_b32 v12, v28, v22
	ds_bpermute_b32 v13, v28, v21
	;; [unrolled: 1-line block ×4, first 2 shown]
	s_and_saveexec_b64 s[10:11], s[0:1]
	s_cbranch_execz .LBB138_17
; %bb.16:                               ;   in Loop: Header=BB138_3 Depth=1
	s_waitcnt lgkmcnt(2)
	v_pk_mov_b32 v[8:9], v[12:13], v[12:13] op_sel:[0,1]
	s_waitcnt lgkmcnt(0)
	v_pk_mov_b32 v[10:11], v[14:15], v[14:15] op_sel:[0,1]
.LBB138_17:                             ;   in Loop: Header=BB138_3 Depth=1
	s_or_b64 exec, exec, s[10:11]
	s_waitcnt lgkmcnt(3)
	ds_bpermute_b32 v12, v28, v20
	s_waitcnt lgkmcnt(3)
	ds_bpermute_b32 v13, v28, v19
	s_waitcnt lgkmcnt(3)
	ds_bpermute_b32 v14, v28, v32
	s_waitcnt lgkmcnt(3)
	ds_bpermute_b32 v15, v28, v33
	s_and_saveexec_b64 s[10:11], s[2:3]
	s_cbranch_execz .LBB138_19
; %bb.18:                               ;   in Loop: Header=BB138_3 Depth=1
	s_waitcnt lgkmcnt(2)
	v_pk_mov_b32 v[8:9], v[12:13], v[12:13] op_sel:[0,1]
	s_waitcnt lgkmcnt(0)
	v_pk_mov_b32 v[10:11], v[14:15], v[14:15] op_sel:[0,1]
.LBB138_19:                             ;   in Loop: Header=BB138_3 Depth=1
	s_or_b64 exec, exec, s[10:11]
	s_waitcnt lgkmcnt(3)
	ds_bpermute_b32 v12, v28, v18
	s_waitcnt lgkmcnt(3)
	ds_bpermute_b32 v13, v28, v17
	s_waitcnt lgkmcnt(3)
	ds_bpermute_b32 v14, v28, v30
	s_waitcnt lgkmcnt(3)
	ds_bpermute_b32 v15, v28, v31
	;; [unrolled: 17-line block ×3, first 2 shown]
	s_and_saveexec_b64 s[10:11], vcc
	s_or_b64 exec, exec, s[10:11]
	ds_bpermute_b32 v22, v29, v22
	ds_bpermute_b32 v23, v29, v21
	;; [unrolled: 1-line block ×4, first 2 shown]
	s_and_saveexec_b64 s[10:11], s[0:1]
	s_cbranch_execz .LBB138_23
; %bb.22:                               ;   in Loop: Header=BB138_3 Depth=1
	s_waitcnt lgkmcnt(2)
	v_pk_mov_b32 v[12:13], v[22:23], v[22:23] op_sel:[0,1]
	s_waitcnt lgkmcnt(0)
	v_pk_mov_b32 v[14:15], v[24:25], v[24:25] op_sel:[0,1]
.LBB138_23:                             ;   in Loop: Header=BB138_3 Depth=1
	s_or_b64 exec, exec, s[10:11]
	ds_bpermute_b32 v20, v29, v20
	ds_bpermute_b32 v21, v29, v19
	s_waitcnt lgkmcnt(5)
	ds_bpermute_b32 v22, v29, v32
	s_waitcnt lgkmcnt(5)
	ds_bpermute_b32 v23, v29, v33
	s_and_saveexec_b64 s[10:11], s[2:3]
	s_cbranch_execz .LBB138_25
; %bb.24:                               ;   in Loop: Header=BB138_3 Depth=1
	s_waitcnt lgkmcnt(2)
	v_pk_mov_b32 v[12:13], v[20:21], v[20:21] op_sel:[0,1]
	s_waitcnt lgkmcnt(0)
	v_pk_mov_b32 v[14:15], v[22:23], v[22:23] op_sel:[0,1]
.LBB138_25:                             ;   in Loop: Header=BB138_3 Depth=1
	s_or_b64 exec, exec, s[10:11]
	ds_bpermute_b32 v18, v29, v18
	ds_bpermute_b32 v19, v29, v17
	s_waitcnt lgkmcnt(5)
	ds_bpermute_b32 v20, v29, v30
	s_waitcnt lgkmcnt(5)
	ds_bpermute_b32 v21, v29, v31
	s_and_saveexec_b64 s[10:11], s[8:9]
	s_cbranch_execz .LBB138_2
; %bb.26:                               ;   in Loop: Header=BB138_3 Depth=1
	s_waitcnt lgkmcnt(2)
	v_pk_mov_b32 v[12:13], v[18:19], v[18:19] op_sel:[0,1]
	s_waitcnt lgkmcnt(0)
	v_pk_mov_b32 v[14:15], v[20:21], v[20:21] op_sel:[0,1]
	s_branch .LBB138_2
.LBB138_27:
	v_pk_mov_b32 v[2:3], 0, 0
	v_mov_b32_e32 v23, v17
	v_mov_b32_e32 v21, v17
	;; [unrolled: 1-line block ×3, first 2 shown]
	v_pk_mov_b32 v[14:15], 0, 0
	v_pk_mov_b32 v[0:1], v[16:17], v[16:17] op_sel:[0,1]
	v_pk_mov_b32 v[4:5], v[22:23], v[22:23] op_sel:[0,1]
	;; [unrolled: 1-line block ×6, first 2 shown]
.LBB138_28:
	s_load_dwordx2 s[0:1], s[4:5], 0x0
	v_lshl_or_b32 v16, s6, 10, v16
	v_mov_b32_e32 v17, 0
	v_lshlrev_b64 v[16:17], 4, v[16:17]
	s_waitcnt lgkmcnt(0)
	v_mov_b32_e32 v18, s1
	v_add_co_u32_e32 v16, vcc, s0, v16
	v_addc_co_u32_e32 v17, vcc, v18, v17, vcc
	global_store_dwordx4 v[16:17], v[0:3], off
	global_store_dwordx4 v[16:17], v[4:7], off offset:16
	global_store_dwordx4 v[16:17], v[8:11], off offset:32
	;; [unrolled: 1-line block ×3, first 2 shown]
	s_endpgm
	.section	.rodata,"a",@progbits
	.p2align	6, 0x0
	.amdhsa_kernel _Z20warp_exchange_kernelILj256ELj4ELj64EN6common25StripedToBlockedShuffleOpEoEvPT3_j
		.amdhsa_group_segment_fixed_size 0
		.amdhsa_private_segment_fixed_size 0
		.amdhsa_kernarg_size 12
		.amdhsa_user_sgpr_count 6
		.amdhsa_user_sgpr_private_segment_buffer 1
		.amdhsa_user_sgpr_dispatch_ptr 0
		.amdhsa_user_sgpr_queue_ptr 0
		.amdhsa_user_sgpr_kernarg_segment_ptr 1
		.amdhsa_user_sgpr_dispatch_id 0
		.amdhsa_user_sgpr_flat_scratch_init 0
		.amdhsa_user_sgpr_kernarg_preload_length 0
		.amdhsa_user_sgpr_kernarg_preload_offset 0
		.amdhsa_user_sgpr_private_segment_size 0
		.amdhsa_uses_dynamic_stack 0
		.amdhsa_system_sgpr_private_segment_wavefront_offset 0
		.amdhsa_system_sgpr_workgroup_id_x 1
		.amdhsa_system_sgpr_workgroup_id_y 0
		.amdhsa_system_sgpr_workgroup_id_z 0
		.amdhsa_system_sgpr_workgroup_info 0
		.amdhsa_system_vgpr_workitem_id 0
		.amdhsa_next_free_vgpr 37
		.amdhsa_next_free_sgpr 12
		.amdhsa_accum_offset 40
		.amdhsa_reserve_vcc 1
		.amdhsa_reserve_flat_scratch 0
		.amdhsa_float_round_mode_32 0
		.amdhsa_float_round_mode_16_64 0
		.amdhsa_float_denorm_mode_32 3
		.amdhsa_float_denorm_mode_16_64 3
		.amdhsa_dx10_clamp 1
		.amdhsa_ieee_mode 1
		.amdhsa_fp16_overflow 0
		.amdhsa_tg_split 0
		.amdhsa_exception_fp_ieee_invalid_op 0
		.amdhsa_exception_fp_denorm_src 0
		.amdhsa_exception_fp_ieee_div_zero 0
		.amdhsa_exception_fp_ieee_overflow 0
		.amdhsa_exception_fp_ieee_underflow 0
		.amdhsa_exception_fp_ieee_inexact 0
		.amdhsa_exception_int_div_zero 0
	.end_amdhsa_kernel
	.section	.text._Z20warp_exchange_kernelILj256ELj4ELj64EN6common25StripedToBlockedShuffleOpEoEvPT3_j,"axG",@progbits,_Z20warp_exchange_kernelILj256ELj4ELj64EN6common25StripedToBlockedShuffleOpEoEvPT3_j,comdat
.Lfunc_end138:
	.size	_Z20warp_exchange_kernelILj256ELj4ELj64EN6common25StripedToBlockedShuffleOpEoEvPT3_j, .Lfunc_end138-_Z20warp_exchange_kernelILj256ELj4ELj64EN6common25StripedToBlockedShuffleOpEoEvPT3_j
                                        ; -- End function
	.section	.AMDGPU.csdata,"",@progbits
; Kernel info:
; codeLenInByte = 1556
; NumSgprs: 16
; NumVgprs: 37
; NumAgprs: 0
; TotalNumVgprs: 37
; ScratchSize: 0
; MemoryBound: 0
; FloatMode: 240
; IeeeMode: 1
; LDSByteSize: 0 bytes/workgroup (compile time only)
; SGPRBlocks: 1
; VGPRBlocks: 4
; NumSGPRsForWavesPerEU: 16
; NumVGPRsForWavesPerEU: 37
; AccumOffset: 40
; Occupancy: 8
; WaveLimiterHint : 0
; COMPUTE_PGM_RSRC2:SCRATCH_EN: 0
; COMPUTE_PGM_RSRC2:USER_SGPR: 6
; COMPUTE_PGM_RSRC2:TRAP_HANDLER: 0
; COMPUTE_PGM_RSRC2:TGID_X_EN: 1
; COMPUTE_PGM_RSRC2:TGID_Y_EN: 0
; COMPUTE_PGM_RSRC2:TGID_Z_EN: 0
; COMPUTE_PGM_RSRC2:TIDIG_COMP_CNT: 0
; COMPUTE_PGM_RSRC3_GFX90A:ACCUM_OFFSET: 9
; COMPUTE_PGM_RSRC3_GFX90A:TG_SPLIT: 0
	.section	.text._Z20warp_exchange_kernelILj256ELj16ELj64EN6common25StripedToBlockedShuffleOpEoEvPT3_j,"axG",@progbits,_Z20warp_exchange_kernelILj256ELj16ELj64EN6common25StripedToBlockedShuffleOpEoEvPT3_j,comdat
	.protected	_Z20warp_exchange_kernelILj256ELj16ELj64EN6common25StripedToBlockedShuffleOpEoEvPT3_j ; -- Begin function _Z20warp_exchange_kernelILj256ELj16ELj64EN6common25StripedToBlockedShuffleOpEoEvPT3_j
	.globl	_Z20warp_exchange_kernelILj256ELj16ELj64EN6common25StripedToBlockedShuffleOpEoEvPT3_j
	.p2align	8
	.type	_Z20warp_exchange_kernelILj256ELj16ELj64EN6common25StripedToBlockedShuffleOpEoEvPT3_j,@function
_Z20warp_exchange_kernelILj256ELj16ELj64EN6common25StripedToBlockedShuffleOpEoEvPT3_j: ; @_Z20warp_exchange_kernelILj256ELj16ELj64EN6common25StripedToBlockedShuffleOpEoEvPT3_j
; %bb.0:
	s_load_dword s6, s[4:5], 0x8
	s_add_u32 s0, s0, s9
	s_addc_u32 s1, s1, 0
	v_lshlrev_b32_e32 v64, 4, v0
	v_or_b32_e32 v56, 1, v64
	v_or_b32_e32 v52, 2, v64
	;; [unrolled: 1-line block ×14, first 2 shown]
	s_waitcnt lgkmcnt(0)
	s_cmp_eq_u32 s6, 0
	v_or_b32_e32 v12, 15, v64
	s_cbranch_scc1 .LBB139_3
; %bb.1:
	v_mbcnt_lo_u32_b32 v1, -1, 0
	v_mbcnt_hi_u32_b32 v1, -1, v1
	v_and_b32_e32 v2, 64, v1
	v_add_u32_e32 v3, 60, v1
	v_and_or_b32 v3, v3, 63, v2
	v_lshlrev_b32_e32 v66, 2, v3
	v_add_u32_e32 v3, 56, v1
	v_and_or_b32 v3, v3, 63, v2
	v_lshlrev_b32_e32 v67, 2, v3
	;; [unrolled: 3-line block ×7, first 2 shown]
	v_lshlrev_b32_e32 v3, 2, v1
	v_xor_b32_e32 v73, 0x80, v3
	v_add_u32_e32 v3, 28, v1
	v_and_or_b32 v3, v3, 63, v2
	v_lshlrev_b32_e32 v74, 2, v3
	v_add_u32_e32 v3, 24, v1
	v_and_or_b32 v3, v3, 63, v2
	v_lshlrev_b32_e32 v75, 2, v3
	;; [unrolled: 3-line block ×7, first 2 shown]
	v_lshrrev_b32_e32 v2, 2, v1
	v_add_u32_e32 v7, -1, v2
	v_mov_b32_e32 v6, 0
	v_and_b32_e32 v7, 15, v7
	v_lshl_add_u32 v82, v7, 4, v6
	v_add_u32_e32 v7, 14, v2
	v_and_b32_e32 v7, 15, v7
	v_lshl_add_u32 v83, v7, 4, v6
	v_add_u32_e32 v7, 13, v2
	;; [unrolled: 3-line block ×5, first 2 shown]
	v_add_u32_e32 v2, 9, v2
	v_bfe_u32 v3, v1, 2, 4
	v_and_b32_e32 v2, 15, v2
	v_lshl_add_u32 v88, v2, 4, v6
	v_xor_b32_e32 v2, 8, v3
	v_lshl_add_u32 v81, v3, 4, v6
	v_add_u32_e32 v3, -1, v2
	v_and_b32_e32 v3, 15, v3
	v_lshl_add_u32 v90, v3, 4, v6
	v_add_u32_e32 v3, 14, v2
	v_and_b32_e32 v3, 15, v3
	v_lshl_add_u32 v91, v3, 4, v6
	v_add_u32_e32 v3, 13, v2
	;; [unrolled: 3-line block ×4, first 2 shown]
	v_and_b32_e32 v3, 15, v3
	v_lshl_add_u32 v89, v2, 4, v6
	v_lshl_add_u32 v94, v3, 4, v6
	v_add_u32_e32 v3, 10, v2
	v_add_u32_e32 v2, 9, v2
	v_and_b32_e32 v2, 15, v2
	v_and_b32_e32 v3, 15, v3
	v_lshl_add_u32 v96, v2, 4, v6
	v_and_b32_e32 v2, 3, v1
	v_add_u32_e32 v1, -1, v1
	v_lshl_add_u32 v95, v3, 4, v6
	v_mov_b32_e32 v3, 0x100
	v_and_b32_e32 v1, 3, v1
	v_lshl_add_u32 v98, v1, 4, v3
	v_xor_b32_e32 v1, 2, v2
	v_lshl_add_u32 v99, v1, 4, v3
	v_add_u32_e32 v1, 3, v1
	v_mov_b32_e32 v13, 0
	v_lshl_add_u32 v97, v2, 4, v3
	v_and_b32_e32 v2, 3, v1
	v_lshlrev_b32_e32 v1, 4, v1
	v_mov_b32_e32 v65, v13
	v_and_b32_e32 v7, 15, v7
	v_lshl_add_u32 v100, v2, 4, v3
	v_or_b32_e32 v2, 64, v1
	v_or_b32_e32 v1, 0xc0, v1
	v_pk_mov_b32 v[14:15], 0, 0
	v_mov_b32_e32 v17, v13
	v_mov_b32_e32 v21, v13
	v_mov_b32_e32 v5, v13
	v_mov_b32_e32 v25, v13
	v_mov_b32_e32 v29, v13
	v_mov_b32_e32 v33, v13
	v_lshl_add_u32 v87, v7, 4, v6
	v_add_u32_e32 v101, 0x100, v2
	v_add_u32_e32 v102, 0x100, v1
	v_pk_mov_b32 v[18:19], 0, 0
	v_pk_mov_b32 v[22:23], 0, 0
	;; [unrolled: 1-line block ×6, first 2 shown]
	v_mov_b32_e32 v9, v13
	v_pk_mov_b32 v[10:11], 0, 0
	v_mov_b32_e32 v37, v13
	v_pk_mov_b32 v[38:39], 0, 0
	v_mov_b32_e32 v41, v13
	v_pk_mov_b32 v[42:43], 0, 0
	v_mov_b32_e32 v45, v13
	v_pk_mov_b32 v[46:47], 0, 0
	v_mov_b32_e32 v1, v13
	v_pk_mov_b32 v[2:3], 0, 0
	v_mov_b32_e32 v49, v13
	v_pk_mov_b32 v[50:51], 0, 0
	v_mov_b32_e32 v53, v13
	v_pk_mov_b32 v[54:55], 0, 0
	v_mov_b32_e32 v57, v13
	v_pk_mov_b32 v[58:59], 0, 0
	v_pk_mov_b32 v[62:63], 0, 0
	v_pk_mov_b32 v[60:61], v[64:65], v[64:65] op_sel:[0,1]
.LBB139_2:                              ; =>This Inner Loop Header: Depth=1
	s_waitcnt vmcnt(22)
	buffer_store_dword v61, off, s[0:3], 0 offset:4
	buffer_store_dword v60, off, s[0:3], 0
	buffer_store_dword v63, off, s[0:3], 0 offset:12
	buffer_store_dword v62, off, s[0:3], 0 offset:8
	;; [unrolled: 1-line block ×30, first 2 shown]
	s_waitcnt vmcnt(51)
	buffer_store_dword v9, off, s[0:3], 0 offset:132
	buffer_store_dword v8, off, s[0:3], 0 offset:128
	;; [unrolled: 1-line block ×16, first 2 shown]
	s_waitcnt vmcnt(62)
	buffer_store_dword v5, off, s[0:3], 0 offset:196
	buffer_store_dword v4, off, s[0:3], 0 offset:192
	;; [unrolled: 1-line block ×16, first 2 shown]
	ds_bpermute_b32 v56, v66, v56
	ds_bpermute_b32 v57, v66, v57
	;; [unrolled: 1-line block ×60, first 2 shown]
	buffer_store_dword v60, v81, s[0:3], 0 offen
	buffer_store_dword v61, v81, s[0:3], 0 offen offset:4
	buffer_store_dword v62, v81, s[0:3], 0 offen offset:8
	;; [unrolled: 1-line block ×3, first 2 shown]
	s_waitcnt lgkmcnt(14)
	buffer_store_dword v56, v82, s[0:3], 0 offen
	buffer_store_dword v57, v82, s[0:3], 0 offen offset:4
	buffer_store_dword v58, v82, s[0:3], 0 offen offset:8
	buffer_store_dword v59, v82, s[0:3], 0 offen offset:12
	buffer_store_dword v52, v83, s[0:3], 0 offen
	buffer_store_dword v53, v83, s[0:3], 0 offen offset:4
	buffer_store_dword v54, v83, s[0:3], 0 offen offset:8
	buffer_store_dword v55, v83, s[0:3], 0 offen offset:12
	;; [unrolled: 4-line block ×5, first 2 shown]
	buffer_store_dword v43, v87, s[0:3], 0 offen offset:12
	buffer_store_dword v42, v87, s[0:3], 0 offen offset:8
	buffer_store_dword v41, v87, s[0:3], 0 offen offset:4
	buffer_store_dword v40, v87, s[0:3], 0 offen
	buffer_store_dword v39, v88, s[0:3], 0 offen offset:12
	buffer_store_dword v38, v88, s[0:3], 0 offen offset:8
	buffer_store_dword v37, v88, s[0:3], 0 offen offset:4
	buffer_store_dword v36, v88, s[0:3], 0 offen
	;; [unrolled: 4-line block ×6, first 2 shown]
	s_waitcnt lgkmcnt(12)
	buffer_store_dword v7, v93, s[0:3], 0 offen offset:12
	buffer_store_dword v6, v93, s[0:3], 0 offen offset:8
	buffer_store_dword v5, v93, s[0:3], 0 offen offset:4
	buffer_store_dword v4, v93, s[0:3], 0 offen
	s_waitcnt lgkmcnt(8)
	buffer_store_dword v23, v94, s[0:3], 0 offen offset:12
	buffer_store_dword v22, v94, s[0:3], 0 offen offset:8
	buffer_store_dword v21, v94, s[0:3], 0 offen offset:4
	buffer_store_dword v20, v94, s[0:3], 0 offen
	;; [unrolled: 5-line block ×4, first 2 shown]
	buffer_load_dword v0, off, s[0:3], 0 offset:80
	buffer_load_dword v1, off, s[0:3], 0 offset:84
	;; [unrolled: 1-line block ×12, first 2 shown]
	s_add_i32 s6, s6, -1
	s_cmp_lg_u32 s6, 0
	s_waitcnt vmcnt(11)
	ds_bpermute_b32 v0, v76, v0
	s_waitcnt vmcnt(10)
	ds_bpermute_b32 v1, v76, v1
	;; [unrolled: 2-line block ×4, first 2 shown]
	s_waitcnt lgkmcnt(0)
	buffer_store_dword v3, off, s[0:3], 0 offset:92
	buffer_store_dword v2, off, s[0:3], 0 offset:88
	;; [unrolled: 1-line block ×4, first 2 shown]
	s_waitcnt vmcnt(11)
	ds_bpermute_b32 v1, v72, v4
	buffer_load_dword v0, off, s[0:3], 0 offset:144
	buffer_load_dword v2, off, s[0:3], 0 offset:208
	;; [unrolled: 1-line block ×5, first 2 shown]
	s_waitcnt vmcnt(15)
	ds_bpermute_b32 v4, v72, v5
	s_waitcnt vmcnt(14)
	ds_bpermute_b32 v5, v72, v6
	s_waitcnt lgkmcnt(2)
	buffer_store_dword v1, off, s[0:3], 0 offset:148
	buffer_load_dword v1, off, s[0:3], 0 offset:148
	s_nop 0
	buffer_load_dword v6, off, s[0:3], 0 offset:212
	buffer_load_dword v19, off, s[0:3], 0 offset:216
	;; [unrolled: 1-line block ×7, first 2 shown]
	s_waitcnt lgkmcnt(0)
	buffer_store_dword v5, off, s[0:3], 0 offset:156
	buffer_store_dword v4, off, s[0:3], 0 offset:152
	buffer_load_dword v5, off, s[0:3], 0 offset:152
	s_nop 0
	buffer_load_dword v25, off, s[0:3], 0 offset:156
	buffer_load_dword v26, off, s[0:3], 0 offset:132
	;; [unrolled: 1-line block ×10, first 2 shown]
	s_waitcnt vmcnt(35)
	ds_bpermute_b32 v4, v71, v7
	buffer_load_dword v7, off, s[0:3], 0 offset:100
	buffer_load_dword v35, off, s[0:3], 0 offset:124
	;; [unrolled: 1-line block ×3, first 2 shown]
	s_waitcnt vmcnt(37)
	ds_bpermute_b32 v13, v80, v8
	s_waitcnt vmcnt(36)
	ds_bpermute_b32 v14, v80, v9
	;; [unrolled: 2-line block ×3, first 2 shown]
	s_waitcnt lgkmcnt(3)
	buffer_store_dword v4, off, s[0:3], 0 offset:168
	buffer_load_dword v4, off, s[0:3], 0 offset:168
	s_nop 0
	buffer_load_dword v37, off, s[0:3], 0 offset:176
	buffer_load_dword v38, off, s[0:3], 0 offset:188
	;; [unrolled: 1-line block ×5, first 2 shown]
	s_waitcnt vmcnt(41)
	ds_bpermute_b32 v16, v80, v11
	buffer_load_dword v8, off, s[0:3], 0 offset:96
	buffer_load_dword v9, off, s[0:3], 0 offset:120
	buffer_load_dword v10, off, s[0:3], 0 offset:224
	buffer_load_dword v11, off, s[0:3], 0 offset:228
	buffer_load_dword v42, off, s[0:3], 0 offset:232
	buffer_load_dword v43, off, s[0:3], 0 offset:236
	buffer_load_dword v44, off, s[0:3], 0 offset:240
	s_waitcnt vmcnt(27)
	v_mov_b32_dpp v5, v5 quad_perm:[2,3,0,1] row_mask:0xf bank_mask:0xf
	ds_bpermute_b32 v12, v72, v0
	ds_bpermute_b32 v0, v68, v2
	;; [unrolled: 1-line block ×5, first 2 shown]
	v_mov_b32_dpp v20, v21 quad_perm:[3,0,1,2] row_mask:0xf bank_mask:0xf
	v_mov_b32_dpp v21, v22 quad_perm:[3,0,1,2] row_mask:0xf bank_mask:0xf
	;; [unrolled: 1-line block ×4, first 2 shown]
	s_waitcnt lgkmcnt(4)
	v_mov_b32_dpp v24, v12 quad_perm:[2,3,0,1] row_mask:0xf bank_mask:0xf
	v_mov_b32_dpp v1, v1 quad_perm:[2,3,0,1] row_mask:0xf bank_mask:0xf
	s_waitcnt vmcnt(26)
	v_mov_b32_dpp v25, v25 quad_perm:[2,3,0,1] row_mask:0xf bank_mask:0xf
	s_waitcnt lgkmcnt(0)
	v_mov_b32_dpp v19, v19 quad_perm:[1,2,3,0] row_mask:0xf bank_mask:0xf
	buffer_store_dword v13, v97, s[0:3], 0 offen offset:64
	buffer_store_dword v14, v97, s[0:3], 0 offen offset:68
	;; [unrolled: 1-line block ×13, first 2 shown]
	s_waitcnt vmcnt(37)
	ds_bpermute_b32 v20, v73, v27
	ds_bpermute_b32 v5, v73, v26
	v_mov_b32_dpp v0, v0 quad_perm:[1,2,3,0] row_mask:0xf bank_mask:0xf
	buffer_load_dword v19, off, s[0:3], 0 offset:380
	v_mov_b32_dpp v1, v2 quad_perm:[1,2,3,0] row_mask:0xf bank_mask:0xf
	v_mov_b32_dpp v2, v6 quad_perm:[1,2,3,0] row_mask:0xf bank_mask:0xf
	buffer_store_dword v0, v101, s[0:3], 0 offen
	buffer_store_dword v1, v101, s[0:3], 0 offen offset:4
	buffer_store_dword v2, v101, s[0:3], 0 offen offset:8
	buffer_load_dword v0, off, s[0:3], 0 offset:320
	s_nop 0
	buffer_load_dword v1, off, s[0:3], 0 offset:324
	s_waitcnt vmcnt(42)
	ds_bpermute_b32 v2, v77, v28
	buffer_load_dword v21, off, s[0:3], 0 offset:116
	s_waitcnt lgkmcnt(2)
	buffer_store_dword v20, off, s[0:3], 0 offset:140
	s_waitcnt lgkmcnt(1)
	buffer_store_dword v5, off, s[0:3], 0 offset:132
	s_waitcnt vmcnt(43)
	ds_bpermute_b32 v20, v71, v30
	s_waitcnt vmcnt(42)
	ds_bpermute_b32 v24, v71, v31
	buffer_load_dword v5, off, s[0:3], 0 offset:180
	buffer_load_dword v22, off, s[0:3], 0 offset:132
	;; [unrolled: 1-line block ×3, first 2 shown]
	s_waitcnt vmcnt(44)
	ds_bpermute_b32 v25, v77, v32
	s_waitcnt lgkmcnt(3)
	buffer_store_dword v2, off, s[0:3], 0 offset:64
	s_waitcnt lgkmcnt(2)
	buffer_store_dword v20, off, s[0:3], 0 offset:172
	;; [unrolled: 2-line block ×3, first 2 shown]
	buffer_load_dword v20, off, s[0:3], 0 offset:164
	s_nop 0
	buffer_load_dword v24, off, s[0:3], 0 offset:172
	buffer_load_dword v26, off, s[0:3], 0 offset:184
	;; [unrolled: 1-line block ×3, first 2 shown]
	ds_bpermute_b32 v6, v77, v29
	s_waitcnt vmcnt(50)
	ds_bpermute_b32 v2, v73, v33
	s_waitcnt vmcnt(49)
	ds_bpermute_b32 v28, v77, v34
	s_waitcnt lgkmcnt(3)
	buffer_store_dword v25, off, s[0:3], 0 offset:76
	s_waitcnt lgkmcnt(2)
	buffer_store_dword v6, off, s[0:3], 0 offset:72
	;; [unrolled: 2-line block ×3, first 2 shown]
	s_waitcnt vmcnt(49)
	ds_bpermute_b32 v2, v73, v36
	buffer_load_dword v6, off, s[0:3], 0 offset:128
	buffer_load_dword v25, off, s[0:3], 0 offset:196
	;; [unrolled: 1-line block ×3, first 2 shown]
	ds_bpermute_b32 v17, v75, v17
	s_waitcnt lgkmcnt(2)
	buffer_store_dword v28, off, s[0:3], 0 offset:68
	s_waitcnt vmcnt(49)
	ds_bpermute_b32 v28, v70, v38
	s_waitcnt lgkmcnt(2)
	buffer_store_dword v2, off, s[0:3], 0 offset:136
	ds_bpermute_b32 v2, v75, v3
	ds_bpermute_b32 v3, v75, v7
	buffer_load_dword v30, off, s[0:3], 0 offset:68
	buffer_load_dword v31, off, s[0:3], 0 offset:72
	;; [unrolled: 1-line block ×3, first 2 shown]
	v_mov_b32_dpp v4, v4 quad_perm:[2,3,0,1] row_mask:0xf bank_mask:0xf
	s_waitcnt lgkmcnt(2)
	buffer_store_dword v28, off, s[0:3], 0 offset:188
	buffer_load_dword v28, off, s[0:3], 0 offset:188
	s_nop 0
	buffer_load_dword v33, off, s[0:3], 0 offset:136
	buffer_load_dword v34, off, s[0:3], 0
	buffer_load_dword v36, off, s[0:3], 0 offset:4
	buffer_load_dword v38, off, s[0:3], 0 offset:8
	buffer_load_dword v45, off, s[0:3], 0 offset:160
	buffer_load_dword v65, off, s[0:3], 0 offset:376
	buffer_load_dword v46, off, s[0:3], 0 offset:32
	buffer_load_dword v47, off, s[0:3], 0 offset:36
	buffer_load_dword v48, off, s[0:3], 0 offset:40
	buffer_load_dword v7, off, s[0:3], 0 offset:44
	buffer_load_dword v49, off, s[0:3], 0 offset:48
	buffer_load_dword v50, off, s[0:3], 0 offset:52
	s_waitcnt lgkmcnt(1)
	buffer_store_dword v2, off, s[0:3], 0 offset:104
	s_waitcnt lgkmcnt(0)
	buffer_store_dword v3, off, s[0:3], 0 offset:100
	s_waitcnt vmcnt(62)
	ds_bpermute_b32 v2, v75, v8
	ds_bpermute_b32 v3, v74, v18
	buffer_load_dword v51, off, s[0:3], 0 offset:100
	buffer_load_dword v52, off, s[0:3], 0 offset:104
	buffer_load_dword v103, off, s[0:3], 0 offset:344
	buffer_load_dword v8, off, s[0:3], 0 offset:56
	buffer_load_dword v53, off, s[0:3], 0 offset:60
	buffer_load_dword v18, off, s[0:3], 0 offset:372
	ds_bpermute_b32 v37, v70, v37
	s_waitcnt lgkmcnt(2)
	buffer_store_dword v2, off, s[0:3], 0 offset:96
	ds_bpermute_b32 v2, v74, v9
	s_waitcnt lgkmcnt(2)
	buffer_store_dword v3, off, s[0:3], 0 offset:112
	buffer_load_dword v9, off, s[0:3], 0 offset:244
	buffer_load_dword v54, off, s[0:3], 0 offset:248
	;; [unrolled: 1-line block ×5, first 2 shown]
	s_waitcnt vmcnt(52)
	ds_bpermute_b32 v3, v74, v21
	s_waitcnt lgkmcnt(1)
	buffer_store_dword v2, off, s[0:3], 0 offset:120
	ds_bpermute_b32 v2, v74, v35
	buffer_load_dword v21, off, s[0:3], 0 offset:96
	buffer_load_dword v57, off, s[0:3], 0 offset:120
	s_waitcnt vmcnt(51)
	v_mov_b32_dpp v22, v22 quad_perm:[2,3,0,1] row_mask:0xf bank_mask:0xf
	buffer_store_dword v17, off, s[0:3], 0 offset:108
	buffer_load_dword v17, off, s[0:3], 0 offset:108
	s_waitcnt vmcnt(52)
	v_mov_b32_dpp v23, v23 quad_perm:[2,3,0,1] row_mask:0xf bank_mask:0xf
	s_waitcnt vmcnt(46)
	ds_bpermute_b32 v26, v70, v26
	s_waitcnt lgkmcnt(2)
	buffer_store_dword v3, off, s[0:3], 0 offset:116
	buffer_load_dword v35, off, s[0:3], 0 offset:116
	s_waitcnt vmcnt(47)
	v_mov_b32_dpp v27, v27 quad_perm:[3,0,1,2] row_mask:0xf bank_mask:0xf
	s_waitcnt lgkmcnt(1)
	buffer_store_dword v2, off, s[0:3], 0 offset:124
	buffer_load_dword v58, off, s[0:3], 0 offset:124
	buffer_load_dword v105, off, s[0:3], 0 offset:336
	;; [unrolled: 1-line block ×7, first 2 shown]
	v_mov_b32_dpp v20, v20 quad_perm:[2,3,0,1] row_mask:0xf bank_mask:0xf
	s_waitcnt lgkmcnt(0)
	buffer_store_dword v26, off, s[0:3], 0 offset:184
	ds_bpermute_b32 v26, v69, v39
	ds_bpermute_b32 v39, v69, v40
	buffer_load_dword v40, off, s[0:3], 0 offset:184
	s_waitcnt vmcnt(52)
	ds_bpermute_b32 v25, v69, v25
	s_waitcnt vmcnt(51)
	ds_bpermute_b32 v29, v69, v29
	v_mov_b32_dpp v6, v6 quad_perm:[2,3,0,1] row_mask:0xf bank_mask:0xf
	s_waitcnt vmcnt(48)
	v_mov_b32_dpp v30, v30 quad_perm:[3,0,1,2] row_mask:0xf bank_mask:0xf
	s_waitcnt vmcnt(47)
	;; [unrolled: 2-line block ×4, first 2 shown]
	v_mov_b32_dpp v33, v33 quad_perm:[2,3,0,1] row_mask:0xf bank_mask:0xf
	s_waitcnt lgkmcnt(3)
	v_mov_b32_dpp v26, v26 quad_perm:[1,2,3,0] row_mask:0xf bank_mask:0xf
	s_waitcnt lgkmcnt(1)
	v_mov_b32_dpp v25, v25 quad_perm:[1,2,3,0] row_mask:0xf bank_mask:0xf
	v_mov_b32_dpp v39, v39 quad_perm:[1,2,3,0] row_mask:0xf bank_mask:0xf
	s_waitcnt lgkmcnt(0)
	v_mov_b32_dpp v29, v29 quad_perm:[1,2,3,0] row_mask:0xf bank_mask:0xf
	s_waitcnt vmcnt(42)
	buffer_store_dword v34, v97, s[0:3], 0 offen
	s_waitcnt vmcnt(42)
	buffer_store_dword v36, v97, s[0:3], 0 offen offset:4
	s_waitcnt vmcnt(42)
	buffer_store_dword v38, v97, s[0:3], 0 offen offset:8
	buffer_store_dword v41, v97, s[0:3], 0 offen offset:12
	buffer_store_dword v27, v98, s[0:3], 0 offen
	buffer_store_dword v30, v98, s[0:3], 0 offen offset:4
	buffer_store_dword v31, v98, s[0:3], 0 offen offset:8
	buffer_store_dword v32, v98, s[0:3], 0 offen offset:12
	buffer_store_dword v6, v99, s[0:3], 0 offen
	buffer_store_dword v22, v99, s[0:3], 0 offen offset:4
	;; [unrolled: 4-line block ×3, first 2 shown]
	buffer_store_dword v39, v100, s[0:3], 0 offen offset:8
	buffer_store_dword v29, v100, s[0:3], 0 offen offset:12
	s_waitcnt vmcnt(53)
	ds_bpermute_b32 v27, v79, v46
	s_waitcnt vmcnt(50)
	ds_bpermute_b32 v31, v79, v7
	;; [unrolled: 2-line block ×3, first 2 shown]
	ds_bpermute_b32 v45, v71, v45
	ds_bpermute_b32 v6, v67, v11
	;; [unrolled: 1-line block ×8, first 2 shown]
	buffer_load_dword v22, off, s[0:3], 0 offset:300
	buffer_load_dword v23, off, s[0:3], 0 offset:296
	;; [unrolled: 1-line block ×8, first 2 shown]
	ds_bpermute_b32 v47, v70, v5
	ds_bpermute_b32 v5, v67, v10
	;; [unrolled: 1-line block ×3, first 2 shown]
	buffer_load_dword v43, off, s[0:3], 0 offset:356
	buffer_load_dword v109, off, s[0:3], 0 offset:364
	;; [unrolled: 1-line block ×3, first 2 shown]
	v_mov_b32_dpp v44, v51 quad_perm:[3,0,1,2] row_mask:0xf bank_mask:0xf
	v_mov_b32_dpp v48, v52 quad_perm:[3,0,1,2] row_mask:0xf bank_mask:0xf
	s_waitcnt lgkmcnt(10)
	v_mov_b32_dpp v52, v45 quad_perm:[2,3,0,1] row_mask:0xf bank_mask:0xf
	v_mov_b32_dpp v24, v24 quad_perm:[2,3,0,1] row_mask:0xf bank_mask:0xf
	s_waitcnt lgkmcnt(9)
	v_mov_b32_dpp v6, v6 quad_perm:[1,2,3,0] row_mask:0xf bank_mask:0xf
	s_waitcnt lgkmcnt(8)
	;; [unrolled: 2-line block ×3, first 2 shown]
	v_mov_b32_dpp v8, v8 quad_perm:[1,2,3,0] row_mask:0xf bank_mask:0xf
	s_waitcnt vmcnt(48)
	ds_bpermute_b32 v9, v66, v9
	s_waitcnt vmcnt(47)
	ds_bpermute_b32 v11, v66, v54
	;; [unrolled: 2-line block ×3, first 2 shown]
	ds_bpermute_b32 v46, v78, v53
	s_waitcnt vmcnt(45)
	v_mov_b32_dpp v49, v56 quad_perm:[3,0,1,2] row_mask:0xf bank_mask:0xf
	v_mov_b32_dpp v53, v37 quad_perm:[2,3,0,1] row_mask:0xf bank_mask:0xf
	s_waitcnt lgkmcnt(6)
	v_mov_b32_dpp v54, v47 quad_perm:[2,3,0,1] row_mask:0xf bank_mask:0xf
	s_waitcnt lgkmcnt(5)
	v_mov_b32_dpp v5, v5 quad_perm:[1,2,3,0] row_mask:0xf bank_mask:0xf
	s_waitcnt vmcnt(42)
	v_mov_b32_dpp v21, v21 quad_perm:[3,0,1,2] row_mask:0xf bank_mask:0xf
	s_waitcnt vmcnt(41)
	v_mov_b32_dpp v50, v57 quad_perm:[3,0,1,2] row_mask:0xf bank_mask:0xf
	s_waitcnt vmcnt(39)
	v_mov_b32_dpp v17, v17 quad_perm:[3,0,1,2] row_mask:0xf bank_mask:0xf
	buffer_store_dword v27, v97, s[0:3], 0 offen offset:128
	buffer_store_dword v29, v97, s[0:3], 0 offen offset:132
	;; [unrolled: 1-line block ×15, first 2 shown]
	buffer_load_dword v17, off, s[0:3], 0 offset:440
	buffer_load_dword v20, off, s[0:3], 0 offset:436
	s_nop 0
	buffer_store_dword v38, v97, s[0:3], 0 offen offset:192
	buffer_store_dword v39, v97, s[0:3], 0 offen offset:196
	v_mov_b32_dpp v6, v28 quad_perm:[2,3,0,1] row_mask:0xf bank_mask:0xf
	s_waitcnt vmcnt(56)
	v_mov_b32_dpp v35, v35 quad_perm:[3,0,1,2] row_mask:0xf bank_mask:0xf
	s_waitcnt vmcnt(54)
	v_mov_b32_dpp v51, v58 quad_perm:[3,0,1,2] row_mask:0xf bank_mask:0xf
	s_waitcnt lgkmcnt(4)
	v_mov_b32_dpp v7, v10 quad_perm:[1,2,3,0] row_mask:0xf bank_mask:0xf
	s_waitcnt lgkmcnt(3)
	;; [unrolled: 2-line block ×4, first 2 shown]
	v_mov_b32_dpp v10, v42 quad_perm:[1,2,3,0] row_mask:0xf bank_mask:0xf
	s_waitcnt vmcnt(53)
	v_mov_b32_dpp v44, v105 quad_perm:[1,2,3,0] row_mask:0xf bank_mask:0xf
	s_waitcnt vmcnt(46)
	v_mov_b32_dpp v4, v40 quad_perm:[2,3,0,1] row_mask:0xf bank_mask:0xf
	buffer_load_dword v21, off, s[0:3], 0 offset:272
	buffer_load_dword v24, off, s[0:3], 0 offset:276
	;; [unrolled: 1-line block ×4, first 2 shown]
	s_nop 0
	buffer_store_dword v41, v97, s[0:3], 0 offen offset:200
	s_waitcnt lgkmcnt(0)
	buffer_store_dword v46, v97, s[0:3], 0 offen offset:204
	buffer_store_dword v49, v98, s[0:3], 0 offen offset:192
	buffer_store_dword v35, v98, s[0:3], 0 offen offset:196
	buffer_store_dword v50, v98, s[0:3], 0 offen offset:200
	buffer_store_dword v51, v98, s[0:3], 0 offen offset:204
	buffer_store_dword v53, v99, s[0:3], 0 offen offset:192
	buffer_store_dword v54, v99, s[0:3], 0 offen offset:196
	buffer_store_dword v4, v99, s[0:3], 0 offen offset:200
	buffer_store_dword v6, v99, s[0:3], 0 offen offset:204
	buffer_store_dword v5, v100, s[0:3], 0 offen offset:128
	buffer_store_dword v7, v102, s[0:3], 0 offen
	buffer_store_dword v8, v102, s[0:3], 0 offen offset:4
	buffer_store_dword v9, v102, s[0:3], 0 offen offset:8
	;; [unrolled: 1-line block ×3, first 2 shown]
	buffer_load_dword v111, off, s[0:3], 0 offset:416
	buffer_load_dword v112, off, s[0:3], 0 offset:420
	;; [unrolled: 1-line block ×34, first 2 shown]
	s_nop 0
	buffer_store_dword v16, off, s[0:3], 0 offset:28
	buffer_store_dword v15, off, s[0:3], 0 offset:24
	;; [unrolled: 1-line block ×16, first 2 shown]
	v_mov_b32_dpp v45, v108 quad_perm:[1,2,3,0] row_mask:0xf bank_mask:0xf
	v_mov_b32_dpp v46, v103 quad_perm:[1,2,3,0] row_mask:0xf bank_mask:0xf
	;; [unrolled: 1-line block ×6, first 2 shown]
	; wave barrier
	s_waitcnt vmcnt(62)
	v_mov_b32_dpp v55, v22 quad_perm:[2,3,0,1] row_mask:0xf bank_mask:0xf
	v_mov_b32_dpp v54, v23 quad_perm:[2,3,0,1] row_mask:0xf bank_mask:0xf
	;; [unrolled: 1-line block ×12, first 2 shown]
	s_waitcnt vmcnt(48)
	v_mov_b32_dpp v29, v112 quad_perm:[2,3,0,1] row_mask:0xf bank_mask:0xf
	s_waitcnt vmcnt(47)
	v_mov_b32_dpp v30, v113 quad_perm:[2,3,0,1] row_mask:0xf bank_mask:0xf
	s_waitcnt vmcnt(46)
	v_mov_b32_dpp v32, v35 quad_perm:[1,2,3,0] row_mask:0xf bank_mask:0xf
	s_waitcnt vmcnt(45)
	v_mov_b32_dpp v33, v114 quad_perm:[1,2,3,0] row_mask:0xf bank_mask:0xf
	s_waitcnt vmcnt(44)
	v_mov_b32_dpp v34, v115 quad_perm:[1,2,3,0] row_mask:0xf bank_mask:0xf
	s_waitcnt vmcnt(43)
	v_mov_b32_dpp v35, v116 quad_perm:[1,2,3,0] row_mask:0xf bank_mask:0xf
	s_waitcnt vmcnt(41)
	v_mov_b32_dpp v31, v118 quad_perm:[2,3,0,1] row_mask:0xf bank_mask:0xf
	s_waitcnt vmcnt(40)
	v_mov_b32_dpp v27, v119 quad_perm:[3,0,1,2] row_mask:0xf bank_mask:0xf
	s_waitcnt vmcnt(37)
	v_mov_b32_dpp v22, v122 quad_perm:[1,2,3,0] row_mask:0xf bank_mask:0xf
	s_waitcnt vmcnt(35)
	v_mov_b32_dpp v18, v124 quad_perm:[2,3,0,1] row_mask:0xf bank_mask:0xf
	s_waitcnt vmcnt(34)
	v_mov_b32_dpp v13, v125 quad_perm:[3,0,1,2] row_mask:0xf bank_mask:0xf
	s_waitcnt vmcnt(33)
	v_mov_b32_dpp v14, v126 quad_perm:[3,0,1,2] row_mask:0xf bank_mask:0xf
	s_waitcnt vmcnt(32)
	v_mov_b32_dpp v12, v127 quad_perm:[3,0,1,2] row_mask:0xf bank_mask:0xf
	v_mov_b32_dpp v26, v17 quad_perm:[3,0,1,2] row_mask:0xf bank_mask:0xf
	v_mov_b32_dpp v25, v20 quad_perm:[3,0,1,2] row_mask:0xf bank_mask:0xf
	;; [unrolled: 1-line block ×3, first 2 shown]
	s_waitcnt vmcnt(29)
	v_mov_b32_dpp v23, v130 quad_perm:[1,2,3,0] row_mask:0xf bank_mask:0xf
	v_mov_b32_dpp v16, v129 quad_perm:[2,3,0,1] row_mask:0xf bank_mask:0xf
	;; [unrolled: 1-line block ×4, first 2 shown]
	s_waitcnt vmcnt(25)
	v_mov_b32_dpp v15, v131 quad_perm:[3,0,1,2] row_mask:0xf bank_mask:0xf
	v_mov_b32_dpp v56, v21 quad_perm:[1,2,3,0] row_mask:0xf bank_mask:0xf
	;; [unrolled: 1-line block ×9, first 2 shown]
	s_cbranch_scc1 .LBB139_2
	s_branch .LBB139_4
.LBB139_3:
	v_mov_b32_e32 v65, 0
	v_pk_mov_b32 v[14:15], 0, 0
	v_pk_mov_b32 v[62:63], 0, 0
	v_mov_b32_e32 v57, v65
	v_mov_b32_e32 v53, v65
	;; [unrolled: 1-line block ×13, first 2 shown]
	v_pk_mov_b32 v[60:61], v[64:65], v[64:65] op_sel:[0,1]
	v_pk_mov_b32 v[58:59], 0, 0
	v_pk_mov_b32 v[54:55], 0, 0
	;; [unrolled: 1-line block ×12, first 2 shown]
	v_mov_b32_e32 v21, v65
	v_pk_mov_b32 v[22:23], 0, 0
	v_mov_b32_e32 v17, v65
	v_pk_mov_b32 v[18:19], 0, 0
.LBB139_4:
	s_load_dwordx2 s[4:5], s[4:5], 0x0
	v_lshl_or_b32 v64, s8, 12, v64
	v_mov_b32_e32 v65, 0
	v_lshlrev_b64 v[64:65], 4, v[64:65]
	s_waitcnt lgkmcnt(0)
	v_mov_b32_e32 v66, s5
	v_add_co_u32_e32 v64, vcc, s4, v64
	v_addc_co_u32_e32 v65, vcc, v66, v65, vcc
	s_waitcnt vmcnt(22)
	global_store_dwordx4 v[64:65], v[60:63], off
	global_store_dwordx4 v[64:65], v[56:59], off offset:16
	global_store_dwordx4 v[64:65], v[52:55], off offset:32
	global_store_dwordx4 v[64:65], v[48:51], off offset:48
	global_store_dwordx4 v[64:65], v[0:3], off offset:64
	global_store_dwordx4 v[64:65], v[44:47], off offset:80
	global_store_dwordx4 v[64:65], v[40:43], off offset:96
	global_store_dwordx4 v[64:65], v[36:39], off offset:112
	s_waitcnt vmcnt(27)
	global_store_dwordx4 v[64:65], v[8:11], off offset:128
	global_store_dwordx4 v[64:65], v[32:35], off offset:144
	;; [unrolled: 1-line block ×4, first 2 shown]
	s_waitcnt vmcnt(28)
	global_store_dwordx4 v[64:65], v[4:7], off offset:192
	global_store_dwordx4 v[64:65], v[20:23], off offset:208
	;; [unrolled: 1-line block ×4, first 2 shown]
	s_endpgm
	.section	.rodata,"a",@progbits
	.p2align	6, 0x0
	.amdhsa_kernel _Z20warp_exchange_kernelILj256ELj16ELj64EN6common25StripedToBlockedShuffleOpEoEvPT3_j
		.amdhsa_group_segment_fixed_size 0
		.amdhsa_private_segment_fixed_size 528
		.amdhsa_kernarg_size 12
		.amdhsa_user_sgpr_count 8
		.amdhsa_user_sgpr_private_segment_buffer 1
		.amdhsa_user_sgpr_dispatch_ptr 0
		.amdhsa_user_sgpr_queue_ptr 0
		.amdhsa_user_sgpr_kernarg_segment_ptr 1
		.amdhsa_user_sgpr_dispatch_id 0
		.amdhsa_user_sgpr_flat_scratch_init 1
		.amdhsa_user_sgpr_kernarg_preload_length 0
		.amdhsa_user_sgpr_kernarg_preload_offset 0
		.amdhsa_user_sgpr_private_segment_size 0
		.amdhsa_uses_dynamic_stack 0
		.amdhsa_system_sgpr_private_segment_wavefront_offset 1
		.amdhsa_system_sgpr_workgroup_id_x 1
		.amdhsa_system_sgpr_workgroup_id_y 0
		.amdhsa_system_sgpr_workgroup_id_z 0
		.amdhsa_system_sgpr_workgroup_info 0
		.amdhsa_system_vgpr_workitem_id 0
		.amdhsa_next_free_vgpr 132
		.amdhsa_next_free_sgpr 10
		.amdhsa_accum_offset 132
		.amdhsa_reserve_vcc 1
		.amdhsa_reserve_flat_scratch 0
		.amdhsa_float_round_mode_32 0
		.amdhsa_float_round_mode_16_64 0
		.amdhsa_float_denorm_mode_32 3
		.amdhsa_float_denorm_mode_16_64 3
		.amdhsa_dx10_clamp 1
		.amdhsa_ieee_mode 1
		.amdhsa_fp16_overflow 0
		.amdhsa_tg_split 0
		.amdhsa_exception_fp_ieee_invalid_op 0
		.amdhsa_exception_fp_denorm_src 0
		.amdhsa_exception_fp_ieee_div_zero 0
		.amdhsa_exception_fp_ieee_overflow 0
		.amdhsa_exception_fp_ieee_underflow 0
		.amdhsa_exception_fp_ieee_inexact 0
		.amdhsa_exception_int_div_zero 0
	.end_amdhsa_kernel
	.section	.text._Z20warp_exchange_kernelILj256ELj16ELj64EN6common25StripedToBlockedShuffleOpEoEvPT3_j,"axG",@progbits,_Z20warp_exchange_kernelILj256ELj16ELj64EN6common25StripedToBlockedShuffleOpEoEvPT3_j,comdat
.Lfunc_end139:
	.size	_Z20warp_exchange_kernelILj256ELj16ELj64EN6common25StripedToBlockedShuffleOpEoEvPT3_j, .Lfunc_end139-_Z20warp_exchange_kernelILj256ELj16ELj64EN6common25StripedToBlockedShuffleOpEoEvPT3_j
                                        ; -- End function
	.section	.AMDGPU.csdata,"",@progbits
; Kernel info:
; codeLenInByte = 6668
; NumSgprs: 14
; NumVgprs: 132
; NumAgprs: 0
; TotalNumVgprs: 132
; ScratchSize: 528
; MemoryBound: 0
; FloatMode: 240
; IeeeMode: 1
; LDSByteSize: 0 bytes/workgroup (compile time only)
; SGPRBlocks: 1
; VGPRBlocks: 16
; NumSGPRsForWavesPerEU: 14
; NumVGPRsForWavesPerEU: 132
; AccumOffset: 132
; Occupancy: 3
; WaveLimiterHint : 1
; COMPUTE_PGM_RSRC2:SCRATCH_EN: 1
; COMPUTE_PGM_RSRC2:USER_SGPR: 8
; COMPUTE_PGM_RSRC2:TRAP_HANDLER: 0
; COMPUTE_PGM_RSRC2:TGID_X_EN: 1
; COMPUTE_PGM_RSRC2:TGID_Y_EN: 0
; COMPUTE_PGM_RSRC2:TGID_Z_EN: 0
; COMPUTE_PGM_RSRC2:TIDIG_COMP_CNT: 0
; COMPUTE_PGM_RSRC3_GFX90A:ACCUM_OFFSET: 32
; COMPUTE_PGM_RSRC3_GFX90A:TG_SPLIT: 0
	.section	.text._Z20warp_exchange_kernelILj256ELj1ELj64E18ScatterToStripedOpoEvPT3_j,"axG",@progbits,_Z20warp_exchange_kernelILj256ELj1ELj64E18ScatterToStripedOpoEvPT3_j,comdat
	.protected	_Z20warp_exchange_kernelILj256ELj1ELj64E18ScatterToStripedOpoEvPT3_j ; -- Begin function _Z20warp_exchange_kernelILj256ELj1ELj64E18ScatterToStripedOpoEvPT3_j
	.globl	_Z20warp_exchange_kernelILj256ELj1ELj64E18ScatterToStripedOpoEvPT3_j
	.p2align	8
	.type	_Z20warp_exchange_kernelILj256ELj1ELj64E18ScatterToStripedOpoEvPT3_j,@function
_Z20warp_exchange_kernelILj256ELj1ELj64E18ScatterToStripedOpoEvPT3_j: ; @_Z20warp_exchange_kernelILj256ELj1ELj64E18ScatterToStripedOpoEvPT3_j
; %bb.0:
	s_load_dword s0, s[4:5], 0x8
	v_mov_b32_e32 v1, 0
	s_waitcnt lgkmcnt(0)
	s_cmp_eq_u32 s0, 0
	s_cbranch_scc1 .LBB140_3
; %bb.1:
	v_not_b32_e32 v2, v0
	v_lshlrev_b32_e32 v3, 4, v0
	v_mbcnt_lo_u32_b32 v6, -1, 0
	v_and_b32_e32 v2, 63, v2
	v_and_b32_e32 v3, 0xc00, v3
	v_mbcnt_hi_u32_b32 v7, -1, v6
	v_pk_mov_b32 v[4:5], 0, 0
	v_lshl_or_b32 v6, v2, 4, v3
	v_lshl_add_u32 v7, v7, 4, v3
	v_pk_mov_b32 v[2:3], v[0:1], v[0:1] op_sel:[0,1]
.LBB140_2:                              ; =>This Inner Loop Header: Depth=1
	s_waitcnt lgkmcnt(0)
	ds_write_b128 v6, v[2:5]
	; wave barrier
	ds_read_b128 v[2:5], v7
	s_add_i32 s0, s0, -1
	s_cmp_lg_u32 s0, 0
	; wave barrier
	s_cbranch_scc1 .LBB140_2
	s_branch .LBB140_4
.LBB140_3:
	v_pk_mov_b32 v[4:5], 0, 0
	v_pk_mov_b32 v[2:3], v[0:1], v[0:1] op_sel:[0,1]
.LBB140_4:
	s_load_dwordx2 s[0:1], s[4:5], 0x0
	v_lshl_or_b32 v0, s6, 8, v0
	v_mov_b32_e32 v1, 0
	v_lshlrev_b64 v[0:1], 4, v[0:1]
	s_waitcnt lgkmcnt(0)
	v_mov_b32_e32 v6, s1
	v_add_co_u32_e32 v0, vcc, s0, v0
	v_addc_co_u32_e32 v1, vcc, v6, v1, vcc
	global_store_dwordx4 v[0:1], v[2:5], off
	s_endpgm
	.section	.rodata,"a",@progbits
	.p2align	6, 0x0
	.amdhsa_kernel _Z20warp_exchange_kernelILj256ELj1ELj64E18ScatterToStripedOpoEvPT3_j
		.amdhsa_group_segment_fixed_size 4096
		.amdhsa_private_segment_fixed_size 0
		.amdhsa_kernarg_size 12
		.amdhsa_user_sgpr_count 6
		.amdhsa_user_sgpr_private_segment_buffer 1
		.amdhsa_user_sgpr_dispatch_ptr 0
		.amdhsa_user_sgpr_queue_ptr 0
		.amdhsa_user_sgpr_kernarg_segment_ptr 1
		.amdhsa_user_sgpr_dispatch_id 0
		.amdhsa_user_sgpr_flat_scratch_init 0
		.amdhsa_user_sgpr_kernarg_preload_length 0
		.amdhsa_user_sgpr_kernarg_preload_offset 0
		.amdhsa_user_sgpr_private_segment_size 0
		.amdhsa_uses_dynamic_stack 0
		.amdhsa_system_sgpr_private_segment_wavefront_offset 0
		.amdhsa_system_sgpr_workgroup_id_x 1
		.amdhsa_system_sgpr_workgroup_id_y 0
		.amdhsa_system_sgpr_workgroup_id_z 0
		.amdhsa_system_sgpr_workgroup_info 0
		.amdhsa_system_vgpr_workitem_id 0
		.amdhsa_next_free_vgpr 8
		.amdhsa_next_free_sgpr 7
		.amdhsa_accum_offset 8
		.amdhsa_reserve_vcc 1
		.amdhsa_reserve_flat_scratch 0
		.amdhsa_float_round_mode_32 0
		.amdhsa_float_round_mode_16_64 0
		.amdhsa_float_denorm_mode_32 3
		.amdhsa_float_denorm_mode_16_64 3
		.amdhsa_dx10_clamp 1
		.amdhsa_ieee_mode 1
		.amdhsa_fp16_overflow 0
		.amdhsa_tg_split 0
		.amdhsa_exception_fp_ieee_invalid_op 0
		.amdhsa_exception_fp_denorm_src 0
		.amdhsa_exception_fp_ieee_div_zero 0
		.amdhsa_exception_fp_ieee_overflow 0
		.amdhsa_exception_fp_ieee_underflow 0
		.amdhsa_exception_fp_ieee_inexact 0
		.amdhsa_exception_int_div_zero 0
	.end_amdhsa_kernel
	.section	.text._Z20warp_exchange_kernelILj256ELj1ELj64E18ScatterToStripedOpoEvPT3_j,"axG",@progbits,_Z20warp_exchange_kernelILj256ELj1ELj64E18ScatterToStripedOpoEvPT3_j,comdat
.Lfunc_end140:
	.size	_Z20warp_exchange_kernelILj256ELj1ELj64E18ScatterToStripedOpoEvPT3_j, .Lfunc_end140-_Z20warp_exchange_kernelILj256ELj1ELj64E18ScatterToStripedOpoEvPT3_j
                                        ; -- End function
	.section	.AMDGPU.csdata,"",@progbits
; Kernel info:
; codeLenInByte = 200
; NumSgprs: 11
; NumVgprs: 8
; NumAgprs: 0
; TotalNumVgprs: 8
; ScratchSize: 0
; MemoryBound: 0
; FloatMode: 240
; IeeeMode: 1
; LDSByteSize: 4096 bytes/workgroup (compile time only)
; SGPRBlocks: 1
; VGPRBlocks: 0
; NumSGPRsForWavesPerEU: 11
; NumVGPRsForWavesPerEU: 8
; AccumOffset: 8
; Occupancy: 8
; WaveLimiterHint : 0
; COMPUTE_PGM_RSRC2:SCRATCH_EN: 0
; COMPUTE_PGM_RSRC2:USER_SGPR: 6
; COMPUTE_PGM_RSRC2:TRAP_HANDLER: 0
; COMPUTE_PGM_RSRC2:TGID_X_EN: 1
; COMPUTE_PGM_RSRC2:TGID_Y_EN: 0
; COMPUTE_PGM_RSRC2:TGID_Z_EN: 0
; COMPUTE_PGM_RSRC2:TIDIG_COMP_CNT: 0
; COMPUTE_PGM_RSRC3_GFX90A:ACCUM_OFFSET: 1
; COMPUTE_PGM_RSRC3_GFX90A:TG_SPLIT: 0
	.section	.text._Z20warp_exchange_kernelILj256ELj4ELj64E18ScatterToStripedOpoEvPT3_j,"axG",@progbits,_Z20warp_exchange_kernelILj256ELj4ELj64E18ScatterToStripedOpoEvPT3_j,comdat
	.protected	_Z20warp_exchange_kernelILj256ELj4ELj64E18ScatterToStripedOpoEvPT3_j ; -- Begin function _Z20warp_exchange_kernelILj256ELj4ELj64E18ScatterToStripedOpoEvPT3_j
	.globl	_Z20warp_exchange_kernelILj256ELj4ELj64E18ScatterToStripedOpoEvPT3_j
	.p2align	8
	.type	_Z20warp_exchange_kernelILj256ELj4ELj64E18ScatterToStripedOpoEvPT3_j,@function
_Z20warp_exchange_kernelILj256ELj4ELj64E18ScatterToStripedOpoEvPT3_j: ; @_Z20warp_exchange_kernelILj256ELj4ELj64E18ScatterToStripedOpoEvPT3_j
; %bb.0:
	s_load_dword s0, s[4:5], 0x8
	v_lshlrev_b32_e32 v18, 2, v0
	v_or_b32_e32 v10, 1, v18
	v_or_b32_e32 v6, 2, v18
	;; [unrolled: 1-line block ×3, first 2 shown]
	s_waitcnt lgkmcnt(0)
	s_cmp_eq_u32 s0, 0
	s_cbranch_scc1 .LBB141_3
; %bb.1:
	v_and_b32_e32 v1, 0xfc, v18
	v_lshlrev_b32_e32 v0, 6, v0
	v_mov_b32_e32 v3, 0
	v_xor_b32_e32 v8, 0xfc, v1
	v_and_b32_e32 v9, 0x3000, v0
	v_mbcnt_lo_u32_b32 v12, -1, 0
	v_pk_mov_b32 v[4:5], 0, 0
	v_mov_b32_e32 v19, v3
	v_lshl_or_b32 v0, v8, 4, v9
	v_mbcnt_hi_u32_b32 v8, -1, v12
	v_pk_mov_b32 v[16:17], 0, 0
	v_mov_b32_e32 v7, v3
	v_mov_b32_e32 v11, v3
	v_lshl_or_b32 v1, v1, 4, v9
	v_lshl_or_b32 v20, v8, 4, v9
	v_pk_mov_b32 v[8:9], v[4:5], v[4:5] op_sel:[0,1]
	v_pk_mov_b32 v[12:13], v[4:5], v[4:5] op_sel:[0,1]
	;; [unrolled: 1-line block ×3, first 2 shown]
.LBB141_2:                              ; =>This Inner Loop Header: Depth=1
	s_waitcnt lgkmcnt(3)
	ds_write_b128 v0, v[14:17]
	s_waitcnt lgkmcnt(3)
	ds_write_b128 v1, v[10:13] offset:16
	s_waitcnt lgkmcnt(3)
	ds_write_b128 v0, v[6:9] offset:32
	;; [unrolled: 2-line block ×3, first 2 shown]
	; wave barrier
	ds_read_b128 v[14:17], v20
	ds_read_b128 v[10:13], v20 offset:1024
	ds_read_b128 v[6:9], v20 offset:2048
	;; [unrolled: 1-line block ×3, first 2 shown]
	s_add_i32 s0, s0, -1
	s_cmp_lg_u32 s0, 0
	; wave barrier
	s_cbranch_scc1 .LBB141_2
	s_branch .LBB141_4
.LBB141_3:
	v_mov_b32_e32 v19, 0
	v_pk_mov_b32 v[16:17], 0, 0
	v_pk_mov_b32 v[4:5], 0, 0
	v_mov_b32_e32 v11, v19
	v_mov_b32_e32 v7, v19
	;; [unrolled: 1-line block ×3, first 2 shown]
	v_pk_mov_b32 v[14:15], v[18:19], v[18:19] op_sel:[0,1]
	v_pk_mov_b32 v[12:13], v[16:17], v[16:17] op_sel:[0,1]
	v_pk_mov_b32 v[8:9], v[16:17], v[16:17] op_sel:[0,1]
.LBB141_4:
	s_load_dwordx2 s[0:1], s[4:5], 0x0
	v_lshl_or_b32 v0, s6, 10, v18
	v_mov_b32_e32 v1, 0
	v_lshlrev_b64 v[0:1], 4, v[0:1]
	s_waitcnt lgkmcnt(0)
	v_mov_b32_e32 v18, s1
	v_add_co_u32_e32 v0, vcc, s0, v0
	v_addc_co_u32_e32 v1, vcc, v18, v1, vcc
	global_store_dwordx4 v[0:1], v[14:17], off
	global_store_dwordx4 v[0:1], v[10:13], off offset:16
	global_store_dwordx4 v[0:1], v[6:9], off offset:32
	;; [unrolled: 1-line block ×3, first 2 shown]
	s_endpgm
	.section	.rodata,"a",@progbits
	.p2align	6, 0x0
	.amdhsa_kernel _Z20warp_exchange_kernelILj256ELj4ELj64E18ScatterToStripedOpoEvPT3_j
		.amdhsa_group_segment_fixed_size 16384
		.amdhsa_private_segment_fixed_size 0
		.amdhsa_kernarg_size 12
		.amdhsa_user_sgpr_count 6
		.amdhsa_user_sgpr_private_segment_buffer 1
		.amdhsa_user_sgpr_dispatch_ptr 0
		.amdhsa_user_sgpr_queue_ptr 0
		.amdhsa_user_sgpr_kernarg_segment_ptr 1
		.amdhsa_user_sgpr_dispatch_id 0
		.amdhsa_user_sgpr_flat_scratch_init 0
		.amdhsa_user_sgpr_kernarg_preload_length 0
		.amdhsa_user_sgpr_kernarg_preload_offset 0
		.amdhsa_user_sgpr_private_segment_size 0
		.amdhsa_uses_dynamic_stack 0
		.amdhsa_system_sgpr_private_segment_wavefront_offset 0
		.amdhsa_system_sgpr_workgroup_id_x 1
		.amdhsa_system_sgpr_workgroup_id_y 0
		.amdhsa_system_sgpr_workgroup_id_z 0
		.amdhsa_system_sgpr_workgroup_info 0
		.amdhsa_system_vgpr_workitem_id 0
		.amdhsa_next_free_vgpr 21
		.amdhsa_next_free_sgpr 7
		.amdhsa_accum_offset 24
		.amdhsa_reserve_vcc 1
		.amdhsa_reserve_flat_scratch 0
		.amdhsa_float_round_mode_32 0
		.amdhsa_float_round_mode_16_64 0
		.amdhsa_float_denorm_mode_32 3
		.amdhsa_float_denorm_mode_16_64 3
		.amdhsa_dx10_clamp 1
		.amdhsa_ieee_mode 1
		.amdhsa_fp16_overflow 0
		.amdhsa_tg_split 0
		.amdhsa_exception_fp_ieee_invalid_op 0
		.amdhsa_exception_fp_denorm_src 0
		.amdhsa_exception_fp_ieee_div_zero 0
		.amdhsa_exception_fp_ieee_overflow 0
		.amdhsa_exception_fp_ieee_underflow 0
		.amdhsa_exception_fp_ieee_inexact 0
		.amdhsa_exception_int_div_zero 0
	.end_amdhsa_kernel
	.section	.text._Z20warp_exchange_kernelILj256ELj4ELj64E18ScatterToStripedOpoEvPT3_j,"axG",@progbits,_Z20warp_exchange_kernelILj256ELj4ELj64E18ScatterToStripedOpoEvPT3_j,comdat
.Lfunc_end141:
	.size	_Z20warp_exchange_kernelILj256ELj4ELj64E18ScatterToStripedOpoEvPT3_j, .Lfunc_end141-_Z20warp_exchange_kernelILj256ELj4ELj64E18ScatterToStripedOpoEvPT3_j
                                        ; -- End function
	.section	.AMDGPU.csdata,"",@progbits
; Kernel info:
; codeLenInByte = 392
; NumSgprs: 11
; NumVgprs: 21
; NumAgprs: 0
; TotalNumVgprs: 21
; ScratchSize: 0
; MemoryBound: 0
; FloatMode: 240
; IeeeMode: 1
; LDSByteSize: 16384 bytes/workgroup (compile time only)
; SGPRBlocks: 1
; VGPRBlocks: 2
; NumSGPRsForWavesPerEU: 11
; NumVGPRsForWavesPerEU: 21
; AccumOffset: 24
; Occupancy: 4
; WaveLimiterHint : 0
; COMPUTE_PGM_RSRC2:SCRATCH_EN: 0
; COMPUTE_PGM_RSRC2:USER_SGPR: 6
; COMPUTE_PGM_RSRC2:TRAP_HANDLER: 0
; COMPUTE_PGM_RSRC2:TGID_X_EN: 1
; COMPUTE_PGM_RSRC2:TGID_Y_EN: 0
; COMPUTE_PGM_RSRC2:TGID_Z_EN: 0
; COMPUTE_PGM_RSRC2:TIDIG_COMP_CNT: 0
; COMPUTE_PGM_RSRC3_GFX90A:ACCUM_OFFSET: 5
; COMPUTE_PGM_RSRC3_GFX90A:TG_SPLIT: 0
	.section	.text._Z20warp_exchange_kernelILj256ELj16ELj64E18ScatterToStripedOpoEvPT3_j,"axG",@progbits,_Z20warp_exchange_kernelILj256ELj16ELj64E18ScatterToStripedOpoEvPT3_j,comdat
	.protected	_Z20warp_exchange_kernelILj256ELj16ELj64E18ScatterToStripedOpoEvPT3_j ; -- Begin function _Z20warp_exchange_kernelILj256ELj16ELj64E18ScatterToStripedOpoEvPT3_j
	.globl	_Z20warp_exchange_kernelILj256ELj16ELj64E18ScatterToStripedOpoEvPT3_j
	.p2align	8
	.type	_Z20warp_exchange_kernelILj256ELj16ELj64E18ScatterToStripedOpoEvPT3_j,@function
_Z20warp_exchange_kernelILj256ELj16ELj64E18ScatterToStripedOpoEvPT3_j: ; @_Z20warp_exchange_kernelILj256ELj16ELj64E18ScatterToStripedOpoEvPT3_j
; %bb.0:
	s_load_dword s0, s[4:5], 0x8
	v_lshlrev_b32_e32 v66, 4, v0
	v_or_b32_e32 v58, 1, v66
	v_or_b32_e32 v54, 2, v66
	;; [unrolled: 1-line block ×14, first 2 shown]
	s_waitcnt lgkmcnt(0)
	s_cmp_eq_u32 s0, 0
	v_or_b32_e32 v2, 15, v66
	s_cbranch_scc1 .LBB142_3
; %bb.1:
	v_lshlrev_b32_e32 v0, 8, v0
	v_mov_b32_e32 v3, 0
	v_and_b32_e32 v4, 0x3f0, v66
	v_and_b32_e32 v5, 0xc000, v0
	v_mbcnt_lo_u32_b32 v0, -1, 0
	v_pk_mov_b32 v[60:61], 0, 0
	v_mov_b32_e32 v67, v3
	v_xor_b32_e32 v1, 0x3f0, v4
	v_mbcnt_hi_u32_b32 v0, -1, v0
	v_pk_mov_b32 v[64:65], 0, 0
	v_mov_b32_e32 v7, v3
	v_mov_b32_e32 v11, v3
	;; [unrolled: 1-line block ×14, first 2 shown]
	v_lshl_or_b32 v0, v0, 4, v5
	v_lshl_or_b32 v1, v1, 4, v5
	;; [unrolled: 1-line block ×3, first 2 shown]
	v_pk_mov_b32 v[62:63], v[66:67], v[66:67] op_sel:[0,1]
	v_pk_mov_b32 v[56:57], v[60:61], v[60:61] op_sel:[0,1]
	;; [unrolled: 1-line block ×15, first 2 shown]
.LBB142_2:                              ; =>This Inner Loop Header: Depth=1
	s_waitcnt lgkmcnt(14)
	ds_write_b128 v1, v[62:65]
	ds_write_b128 v68, v[58:61] offset:16
	s_waitcnt lgkmcnt(14)
	ds_write_b128 v1, v[54:57] offset:32
	ds_write_b128 v68, v[50:53] offset:48
	s_waitcnt lgkmcnt(14)
	ds_write_b128 v1, v[46:49] offset:64
	;; [unrolled: 3-line block ×7, first 2 shown]
	ds_write_b128 v68, v[2:5] offset:240
	; wave barrier
	ds_read_b128 v[62:65], v0
	ds_read_b128 v[58:61], v0 offset:1024
	ds_read_b128 v[54:57], v0 offset:2048
	;; [unrolled: 1-line block ×15, first 2 shown]
	s_add_i32 s0, s0, -1
	s_cmp_lg_u32 s0, 0
	; wave barrier
	s_cbranch_scc1 .LBB142_2
	s_branch .LBB142_4
.LBB142_3:
	v_mov_b32_e32 v67, 0
	v_pk_mov_b32 v[8:9], 0, 0
	v_pk_mov_b32 v[4:5], 0, 0
	v_mov_b32_e32 v59, v67
	v_mov_b32_e32 v55, v67
	;; [unrolled: 1-line block ×15, first 2 shown]
	v_pk_mov_b32 v[12:13], v[8:9], v[8:9] op_sel:[0,1]
	v_pk_mov_b32 v[16:17], v[8:9], v[8:9] op_sel:[0,1]
	;; [unrolled: 1-line block ×15, first 2 shown]
.LBB142_4:
	s_load_dwordx2 s[0:1], s[4:5], 0x0
	v_lshl_or_b32 v0, s6, 12, v66
	v_mov_b32_e32 v1, 0
	v_lshlrev_b64 v[0:1], 4, v[0:1]
	s_waitcnt lgkmcnt(0)
	v_mov_b32_e32 v66, s1
	v_add_co_u32_e32 v0, vcc, s0, v0
	v_addc_co_u32_e32 v1, vcc, v66, v1, vcc
	global_store_dwordx4 v[0:1], v[62:65], off
	global_store_dwordx4 v[0:1], v[58:61], off offset:16
	global_store_dwordx4 v[0:1], v[54:57], off offset:32
	global_store_dwordx4 v[0:1], v[50:53], off offset:48
	global_store_dwordx4 v[0:1], v[46:49], off offset:64
	global_store_dwordx4 v[0:1], v[42:45], off offset:80
	global_store_dwordx4 v[0:1], v[38:41], off offset:96
	global_store_dwordx4 v[0:1], v[34:37], off offset:112
	global_store_dwordx4 v[0:1], v[30:33], off offset:128
	global_store_dwordx4 v[0:1], v[26:29], off offset:144
	global_store_dwordx4 v[0:1], v[22:25], off offset:160
	global_store_dwordx4 v[0:1], v[18:21], off offset:176
	global_store_dwordx4 v[0:1], v[14:17], off offset:192
	global_store_dwordx4 v[0:1], v[10:13], off offset:208
	global_store_dwordx4 v[0:1], v[6:9], off offset:224
	global_store_dwordx4 v[0:1], v[2:5], off offset:240
	s_endpgm
	.section	.rodata,"a",@progbits
	.p2align	6, 0x0
	.amdhsa_kernel _Z20warp_exchange_kernelILj256ELj16ELj64E18ScatterToStripedOpoEvPT3_j
		.amdhsa_group_segment_fixed_size 65536
		.amdhsa_private_segment_fixed_size 0
		.amdhsa_kernarg_size 12
		.amdhsa_user_sgpr_count 6
		.amdhsa_user_sgpr_private_segment_buffer 1
		.amdhsa_user_sgpr_dispatch_ptr 0
		.amdhsa_user_sgpr_queue_ptr 0
		.amdhsa_user_sgpr_kernarg_segment_ptr 1
		.amdhsa_user_sgpr_dispatch_id 0
		.amdhsa_user_sgpr_flat_scratch_init 0
		.amdhsa_user_sgpr_kernarg_preload_length 0
		.amdhsa_user_sgpr_kernarg_preload_offset 0
		.amdhsa_user_sgpr_private_segment_size 0
		.amdhsa_uses_dynamic_stack 0
		.amdhsa_system_sgpr_private_segment_wavefront_offset 0
		.amdhsa_system_sgpr_workgroup_id_x 1
		.amdhsa_system_sgpr_workgroup_id_y 0
		.amdhsa_system_sgpr_workgroup_id_z 0
		.amdhsa_system_sgpr_workgroup_info 0
		.amdhsa_system_vgpr_workitem_id 0
		.amdhsa_next_free_vgpr 69
		.amdhsa_next_free_sgpr 7
		.amdhsa_accum_offset 72
		.amdhsa_reserve_vcc 1
		.amdhsa_reserve_flat_scratch 0
		.amdhsa_float_round_mode_32 0
		.amdhsa_float_round_mode_16_64 0
		.amdhsa_float_denorm_mode_32 3
		.amdhsa_float_denorm_mode_16_64 3
		.amdhsa_dx10_clamp 1
		.amdhsa_ieee_mode 1
		.amdhsa_fp16_overflow 0
		.amdhsa_tg_split 0
		.amdhsa_exception_fp_ieee_invalid_op 0
		.amdhsa_exception_fp_denorm_src 0
		.amdhsa_exception_fp_ieee_div_zero 0
		.amdhsa_exception_fp_ieee_overflow 0
		.amdhsa_exception_fp_ieee_underflow 0
		.amdhsa_exception_fp_ieee_inexact 0
		.amdhsa_exception_int_div_zero 0
	.end_amdhsa_kernel
	.section	.text._Z20warp_exchange_kernelILj256ELj16ELj64E18ScatterToStripedOpoEvPT3_j,"axG",@progbits,_Z20warp_exchange_kernelILj256ELj16ELj64E18ScatterToStripedOpoEvPT3_j,comdat
.Lfunc_end142:
	.size	_Z20warp_exchange_kernelILj256ELj16ELj64E18ScatterToStripedOpoEvPT3_j, .Lfunc_end142-_Z20warp_exchange_kernelILj256ELj16ELj64E18ScatterToStripedOpoEvPT3_j
                                        ; -- End function
	.section	.AMDGPU.csdata,"",@progbits
; Kernel info:
; codeLenInByte = 1032
; NumSgprs: 11
; NumVgprs: 69
; NumAgprs: 0
; TotalNumVgprs: 69
; ScratchSize: 0
; MemoryBound: 1
; FloatMode: 240
; IeeeMode: 1
; LDSByteSize: 65536 bytes/workgroup (compile time only)
; SGPRBlocks: 1
; VGPRBlocks: 8
; NumSGPRsForWavesPerEU: 11
; NumVGPRsForWavesPerEU: 69
; AccumOffset: 72
; Occupancy: 1
; WaveLimiterHint : 1
; COMPUTE_PGM_RSRC2:SCRATCH_EN: 0
; COMPUTE_PGM_RSRC2:USER_SGPR: 6
; COMPUTE_PGM_RSRC2:TRAP_HANDLER: 0
; COMPUTE_PGM_RSRC2:TGID_X_EN: 1
; COMPUTE_PGM_RSRC2:TGID_Y_EN: 0
; COMPUTE_PGM_RSRC2:TGID_Z_EN: 0
; COMPUTE_PGM_RSRC2:TIDIG_COMP_CNT: 0
; COMPUTE_PGM_RSRC3_GFX90A:ACCUM_OFFSET: 17
; COMPUTE_PGM_RSRC3_GFX90A:TG_SPLIT: 0
	.text
	.p2alignl 6, 3212836864
	.fill 256, 4, 3212836864
	.type	__hip_cuid_3b44565f8291f87,@object ; @__hip_cuid_3b44565f8291f87
	.section	.bss,"aw",@nobits
	.globl	__hip_cuid_3b44565f8291f87
__hip_cuid_3b44565f8291f87:
	.byte	0                               ; 0x0
	.size	__hip_cuid_3b44565f8291f87, 1

	.ident	"AMD clang version 19.0.0git (https://github.com/RadeonOpenCompute/llvm-project roc-6.4.0 25133 c7fe45cf4b819c5991fe208aaa96edf142730f1d)"
	.section	".note.GNU-stack","",@progbits
	.addrsig
	.addrsig_sym __hip_cuid_3b44565f8291f87
	.amdgpu_metadata
---
amdhsa.kernels:
  - .agpr_count:     0
    .args:
      - .address_space:  global
        .offset:         0
        .size:           8
        .value_kind:     global_buffer
      - .offset:         8
        .size:           4
        .value_kind:     by_value
    .group_segment_fixed_size: 1024
    .kernarg_segment_align: 8
    .kernarg_segment_size: 12
    .language:       OpenCL C
    .language_version:
      - 2
      - 0
    .max_flat_workgroup_size: 256
    .name:           _Z20warp_exchange_kernelILj256ELj1ELj16EN6common18BlockedToStripedOpEiEvPT3_j
    .private_segment_fixed_size: 0
    .sgpr_count:     11
    .sgpr_spill_count: 0
    .symbol:         _Z20warp_exchange_kernelILj256ELj1ELj16EN6common18BlockedToStripedOpEiEvPT3_j.kd
    .uniform_work_group_size: 1
    .uses_dynamic_stack: false
    .vgpr_count:     4
    .vgpr_spill_count: 0
    .wavefront_size: 64
  - .agpr_count:     0
    .args:
      - .address_space:  global
        .offset:         0
        .size:           8
        .value_kind:     global_buffer
      - .offset:         8
        .size:           4
        .value_kind:     by_value
    .group_segment_fixed_size: 1024
    .kernarg_segment_align: 8
    .kernarg_segment_size: 12
    .language:       OpenCL C
    .language_version:
      - 2
      - 0
    .max_flat_workgroup_size: 256
    .name:           _Z20warp_exchange_kernelILj256ELj1ELj32EN6common18BlockedToStripedOpEiEvPT3_j
    .private_segment_fixed_size: 0
    .sgpr_count:     11
    .sgpr_spill_count: 0
    .symbol:         _Z20warp_exchange_kernelILj256ELj1ELj32EN6common18BlockedToStripedOpEiEvPT3_j.kd
    .uniform_work_group_size: 1
    .uses_dynamic_stack: false
    .vgpr_count:     4
    .vgpr_spill_count: 0
    .wavefront_size: 64
  - .agpr_count:     0
    .args:
      - .address_space:  global
        .offset:         0
        .size:           8
        .value_kind:     global_buffer
      - .offset:         8
        .size:           4
        .value_kind:     by_value
    .group_segment_fixed_size: 4096
    .kernarg_segment_align: 8
    .kernarg_segment_size: 12
    .language:       OpenCL C
    .language_version:
      - 2
      - 0
    .max_flat_workgroup_size: 256
    .name:           _Z20warp_exchange_kernelILj256ELj4ELj16EN6common18BlockedToStripedOpEiEvPT3_j
    .private_segment_fixed_size: 0
    .sgpr_count:     11
    .sgpr_spill_count: 0
    .symbol:         _Z20warp_exchange_kernelILj256ELj4ELj16EN6common18BlockedToStripedOpEiEvPT3_j.kd
    .uniform_work_group_size: 1
    .uses_dynamic_stack: false
    .vgpr_count:     8
    .vgpr_spill_count: 0
    .wavefront_size: 64
  - .agpr_count:     0
    .args:
      - .address_space:  global
        .offset:         0
        .size:           8
        .value_kind:     global_buffer
      - .offset:         8
        .size:           4
        .value_kind:     by_value
    .group_segment_fixed_size: 4096
    .kernarg_segment_align: 8
    .kernarg_segment_size: 12
    .language:       OpenCL C
    .language_version:
      - 2
      - 0
    .max_flat_workgroup_size: 256
    .name:           _Z20warp_exchange_kernelILj256ELj4ELj32EN6common18BlockedToStripedOpEiEvPT3_j
    .private_segment_fixed_size: 0
    .sgpr_count:     11
    .sgpr_spill_count: 0
    .symbol:         _Z20warp_exchange_kernelILj256ELj4ELj32EN6common18BlockedToStripedOpEiEvPT3_j.kd
    .uniform_work_group_size: 1
    .uses_dynamic_stack: false
    .vgpr_count:     8
    .vgpr_spill_count: 0
    .wavefront_size: 64
  - .agpr_count:     0
    .args:
      - .address_space:  global
        .offset:         0
        .size:           8
        .value_kind:     global_buffer
      - .offset:         8
        .size:           4
        .value_kind:     by_value
    .group_segment_fixed_size: 16384
    .kernarg_segment_align: 8
    .kernarg_segment_size: 12
    .language:       OpenCL C
    .language_version:
      - 2
      - 0
    .max_flat_workgroup_size: 256
    .name:           _Z20warp_exchange_kernelILj256ELj16ELj16EN6common18BlockedToStripedOpEiEvPT3_j
    .private_segment_fixed_size: 0
    .sgpr_count:     11
    .sgpr_spill_count: 0
    .symbol:         _Z20warp_exchange_kernelILj256ELj16ELj16EN6common18BlockedToStripedOpEiEvPT3_j.kd
    .uniform_work_group_size: 1
    .uses_dynamic_stack: false
    .vgpr_count:     34
    .vgpr_spill_count: 0
    .wavefront_size: 64
  - .agpr_count:     0
    .args:
      - .address_space:  global
        .offset:         0
        .size:           8
        .value_kind:     global_buffer
      - .offset:         8
        .size:           4
        .value_kind:     by_value
    .group_segment_fixed_size: 16384
    .kernarg_segment_align: 8
    .kernarg_segment_size: 12
    .language:       OpenCL C
    .language_version:
      - 2
      - 0
    .max_flat_workgroup_size: 256
    .name:           _Z20warp_exchange_kernelILj256ELj16ELj32EN6common18BlockedToStripedOpEiEvPT3_j
    .private_segment_fixed_size: 0
    .sgpr_count:     11
    .sgpr_spill_count: 0
    .symbol:         _Z20warp_exchange_kernelILj256ELj16ELj32EN6common18BlockedToStripedOpEiEvPT3_j.kd
    .uniform_work_group_size: 1
    .uses_dynamic_stack: false
    .vgpr_count:     35
    .vgpr_spill_count: 0
    .wavefront_size: 64
  - .agpr_count:     0
    .args:
      - .address_space:  global
        .offset:         0
        .size:           8
        .value_kind:     global_buffer
      - .offset:         8
        .size:           4
        .value_kind:     by_value
    .group_segment_fixed_size: 32768
    .kernarg_segment_align: 8
    .kernarg_segment_size: 12
    .language:       OpenCL C
    .language_version:
      - 2
      - 0
    .max_flat_workgroup_size: 256
    .name:           _Z20warp_exchange_kernelILj256ELj32ELj32EN6common18BlockedToStripedOpEiEvPT3_j
    .private_segment_fixed_size: 0
    .sgpr_count:     11
    .sgpr_spill_count: 0
    .symbol:         _Z20warp_exchange_kernelILj256ELj32ELj32EN6common18BlockedToStripedOpEiEvPT3_j.kd
    .uniform_work_group_size: 1
    .uses_dynamic_stack: false
    .vgpr_count:     69
    .vgpr_spill_count: 0
    .wavefront_size: 64
  - .agpr_count:     0
    .args:
      - .address_space:  global
        .offset:         0
        .size:           8
        .value_kind:     global_buffer
      - .offset:         8
        .size:           4
        .value_kind:     by_value
    .group_segment_fixed_size: 1024
    .kernarg_segment_align: 8
    .kernarg_segment_size: 12
    .language:       OpenCL C
    .language_version:
      - 2
      - 0
    .max_flat_workgroup_size: 256
    .name:           _Z20warp_exchange_kernelILj256ELj1ELj16EN6common18StripedToBlockedOpEiEvPT3_j
    .private_segment_fixed_size: 0
    .sgpr_count:     11
    .sgpr_spill_count: 0
    .symbol:         _Z20warp_exchange_kernelILj256ELj1ELj16EN6common18StripedToBlockedOpEiEvPT3_j.kd
    .uniform_work_group_size: 1
    .uses_dynamic_stack: false
    .vgpr_count:     4
    .vgpr_spill_count: 0
    .wavefront_size: 64
  - .agpr_count:     0
    .args:
      - .address_space:  global
        .offset:         0
        .size:           8
        .value_kind:     global_buffer
      - .offset:         8
        .size:           4
        .value_kind:     by_value
    .group_segment_fixed_size: 1024
    .kernarg_segment_align: 8
    .kernarg_segment_size: 12
    .language:       OpenCL C
    .language_version:
      - 2
      - 0
    .max_flat_workgroup_size: 256
    .name:           _Z20warp_exchange_kernelILj256ELj1ELj32EN6common18StripedToBlockedOpEiEvPT3_j
    .private_segment_fixed_size: 0
    .sgpr_count:     11
    .sgpr_spill_count: 0
    .symbol:         _Z20warp_exchange_kernelILj256ELj1ELj32EN6common18StripedToBlockedOpEiEvPT3_j.kd
    .uniform_work_group_size: 1
    .uses_dynamic_stack: false
    .vgpr_count:     4
    .vgpr_spill_count: 0
    .wavefront_size: 64
  - .agpr_count:     0
    .args:
      - .address_space:  global
        .offset:         0
        .size:           8
        .value_kind:     global_buffer
      - .offset:         8
        .size:           4
        .value_kind:     by_value
    .group_segment_fixed_size: 4096
    .kernarg_segment_align: 8
    .kernarg_segment_size: 12
    .language:       OpenCL C
    .language_version:
      - 2
      - 0
    .max_flat_workgroup_size: 256
    .name:           _Z20warp_exchange_kernelILj256ELj4ELj16EN6common18StripedToBlockedOpEiEvPT3_j
    .private_segment_fixed_size: 0
    .sgpr_count:     11
    .sgpr_spill_count: 0
    .symbol:         _Z20warp_exchange_kernelILj256ELj4ELj16EN6common18StripedToBlockedOpEiEvPT3_j.kd
    .uniform_work_group_size: 1
    .uses_dynamic_stack: false
    .vgpr_count:     8
    .vgpr_spill_count: 0
    .wavefront_size: 64
  - .agpr_count:     0
    .args:
      - .address_space:  global
        .offset:         0
        .size:           8
        .value_kind:     global_buffer
      - .offset:         8
        .size:           4
        .value_kind:     by_value
    .group_segment_fixed_size: 4096
    .kernarg_segment_align: 8
    .kernarg_segment_size: 12
    .language:       OpenCL C
    .language_version:
      - 2
      - 0
    .max_flat_workgroup_size: 256
    .name:           _Z20warp_exchange_kernelILj256ELj4ELj32EN6common18StripedToBlockedOpEiEvPT3_j
    .private_segment_fixed_size: 0
    .sgpr_count:     11
    .sgpr_spill_count: 0
    .symbol:         _Z20warp_exchange_kernelILj256ELj4ELj32EN6common18StripedToBlockedOpEiEvPT3_j.kd
    .uniform_work_group_size: 1
    .uses_dynamic_stack: false
    .vgpr_count:     8
    .vgpr_spill_count: 0
    .wavefront_size: 64
  - .agpr_count:     0
    .args:
      - .address_space:  global
        .offset:         0
        .size:           8
        .value_kind:     global_buffer
      - .offset:         8
        .size:           4
        .value_kind:     by_value
    .group_segment_fixed_size: 16384
    .kernarg_segment_align: 8
    .kernarg_segment_size: 12
    .language:       OpenCL C
    .language_version:
      - 2
      - 0
    .max_flat_workgroup_size: 256
    .name:           _Z20warp_exchange_kernelILj256ELj16ELj16EN6common18StripedToBlockedOpEiEvPT3_j
    .private_segment_fixed_size: 0
    .sgpr_count:     11
    .sgpr_spill_count: 0
    .symbol:         _Z20warp_exchange_kernelILj256ELj16ELj16EN6common18StripedToBlockedOpEiEvPT3_j.kd
    .uniform_work_group_size: 1
    .uses_dynamic_stack: false
    .vgpr_count:     20
    .vgpr_spill_count: 0
    .wavefront_size: 64
  - .agpr_count:     0
    .args:
      - .address_space:  global
        .offset:         0
        .size:           8
        .value_kind:     global_buffer
      - .offset:         8
        .size:           4
        .value_kind:     by_value
    .group_segment_fixed_size: 16384
    .kernarg_segment_align: 8
    .kernarg_segment_size: 12
    .language:       OpenCL C
    .language_version:
      - 2
      - 0
    .max_flat_workgroup_size: 256
    .name:           _Z20warp_exchange_kernelILj256ELj16ELj32EN6common18StripedToBlockedOpEiEvPT3_j
    .private_segment_fixed_size: 0
    .sgpr_count:     11
    .sgpr_spill_count: 0
    .symbol:         _Z20warp_exchange_kernelILj256ELj16ELj32EN6common18StripedToBlockedOpEiEvPT3_j.kd
    .uniform_work_group_size: 1
    .uses_dynamic_stack: false
    .vgpr_count:     20
    .vgpr_spill_count: 0
    .wavefront_size: 64
  - .agpr_count:     0
    .args:
      - .address_space:  global
        .offset:         0
        .size:           8
        .value_kind:     global_buffer
      - .offset:         8
        .size:           4
        .value_kind:     by_value
    .group_segment_fixed_size: 32768
    .kernarg_segment_align: 8
    .kernarg_segment_size: 12
    .language:       OpenCL C
    .language_version:
      - 2
      - 0
    .max_flat_workgroup_size: 256
    .name:           _Z20warp_exchange_kernelILj256ELj32ELj32EN6common18StripedToBlockedOpEiEvPT3_j
    .private_segment_fixed_size: 0
    .sgpr_count:     11
    .sgpr_spill_count: 0
    .symbol:         _Z20warp_exchange_kernelILj256ELj32ELj32EN6common18StripedToBlockedOpEiEvPT3_j.kd
    .uniform_work_group_size: 1
    .uses_dynamic_stack: false
    .vgpr_count:     38
    .vgpr_spill_count: 0
    .wavefront_size: 64
  - .agpr_count:     0
    .args:
      - .address_space:  global
        .offset:         0
        .size:           8
        .value_kind:     global_buffer
      - .offset:         8
        .size:           4
        .value_kind:     by_value
    .group_segment_fixed_size: 0
    .kernarg_segment_align: 8
    .kernarg_segment_size: 12
    .language:       OpenCL C
    .language_version:
      - 2
      - 0
    .max_flat_workgroup_size: 256
    .name:           _Z20warp_exchange_kernelILj256ELj1ELj16EN6common25BlockedToStripedShuffleOpEiEvPT3_j
    .private_segment_fixed_size: 0
    .sgpr_count:     11
    .sgpr_spill_count: 0
    .symbol:         _Z20warp_exchange_kernelILj256ELj1ELj16EN6common25BlockedToStripedShuffleOpEiEvPT3_j.kd
    .uniform_work_group_size: 1
    .uses_dynamic_stack: false
    .vgpr_count:     4
    .vgpr_spill_count: 0
    .wavefront_size: 64
  - .agpr_count:     0
    .args:
      - .address_space:  global
        .offset:         0
        .size:           8
        .value_kind:     global_buffer
      - .offset:         8
        .size:           4
        .value_kind:     by_value
    .group_segment_fixed_size: 0
    .kernarg_segment_align: 8
    .kernarg_segment_size: 12
    .language:       OpenCL C
    .language_version:
      - 2
      - 0
    .max_flat_workgroup_size: 256
    .name:           _Z20warp_exchange_kernelILj256ELj1ELj32EN6common25BlockedToStripedShuffleOpEiEvPT3_j
    .private_segment_fixed_size: 0
    .sgpr_count:     11
    .sgpr_spill_count: 0
    .symbol:         _Z20warp_exchange_kernelILj256ELj1ELj32EN6common25BlockedToStripedShuffleOpEiEvPT3_j.kd
    .uniform_work_group_size: 1
    .uses_dynamic_stack: false
    .vgpr_count:     4
    .vgpr_spill_count: 0
    .wavefront_size: 64
  - .agpr_count:     0
    .args:
      - .address_space:  global
        .offset:         0
        .size:           8
        .value_kind:     global_buffer
      - .offset:         8
        .size:           4
        .value_kind:     by_value
    .group_segment_fixed_size: 0
    .kernarg_segment_align: 8
    .kernarg_segment_size: 12
    .language:       OpenCL C
    .language_version:
      - 2
      - 0
    .max_flat_workgroup_size: 256
    .name:           _Z20warp_exchange_kernelILj256ELj4ELj16EN6common25BlockedToStripedShuffleOpEiEvPT3_j
    .private_segment_fixed_size: 0
    .sgpr_count:     56
    .sgpr_spill_count: 0
    .symbol:         _Z20warp_exchange_kernelILj256ELj4ELj16EN6common25BlockedToStripedShuffleOpEiEvPT3_j.kd
    .uniform_work_group_size: 1
    .uses_dynamic_stack: false
    .vgpr_count:     21
    .vgpr_spill_count: 0
    .wavefront_size: 64
  - .agpr_count:     0
    .args:
      - .address_space:  global
        .offset:         0
        .size:           8
        .value_kind:     global_buffer
      - .offset:         8
        .size:           4
        .value_kind:     by_value
    .group_segment_fixed_size: 0
    .kernarg_segment_align: 8
    .kernarg_segment_size: 12
    .language:       OpenCL C
    .language_version:
      - 2
      - 0
    .max_flat_workgroup_size: 256
    .name:           _Z20warp_exchange_kernelILj256ELj4ELj32EN6common25BlockedToStripedShuffleOpEiEvPT3_j
    .private_segment_fixed_size: 0
    .sgpr_count:     13
    .sgpr_spill_count: 0
    .symbol:         _Z20warp_exchange_kernelILj256ELj4ELj32EN6common25BlockedToStripedShuffleOpEiEvPT3_j.kd
    .uniform_work_group_size: 1
    .uses_dynamic_stack: false
    .vgpr_count:     17
    .vgpr_spill_count: 0
    .wavefront_size: 64
  - .agpr_count:     0
    .args:
      - .address_space:  global
        .offset:         0
        .size:           8
        .value_kind:     global_buffer
      - .offset:         8
        .size:           4
        .value_kind:     by_value
    .group_segment_fixed_size: 0
    .kernarg_segment_align: 8
    .kernarg_segment_size: 12
    .language:       OpenCL C
    .language_version:
      - 2
      - 0
    .max_flat_workgroup_size: 256
    .name:           _Z20warp_exchange_kernelILj256ELj16ELj16EN6common25BlockedToStripedShuffleOpEiEvPT3_j
    .private_segment_fixed_size: 80
    .sgpr_count:     14
    .sgpr_spill_count: 0
    .symbol:         _Z20warp_exchange_kernelILj256ELj16ELj16EN6common25BlockedToStripedShuffleOpEiEvPT3_j.kd
    .uniform_work_group_size: 1
    .uses_dynamic_stack: false
    .vgpr_count:     50
    .vgpr_spill_count: 0
    .wavefront_size: 64
  - .agpr_count:     0
    .args:
      - .address_space:  global
        .offset:         0
        .size:           8
        .value_kind:     global_buffer
      - .offset:         8
        .size:           4
        .value_kind:     by_value
    .group_segment_fixed_size: 0
    .kernarg_segment_align: 8
    .kernarg_segment_size: 12
    .language:       OpenCL C
    .language_version:
      - 2
      - 0
    .max_flat_workgroup_size: 256
    .name:           _Z20warp_exchange_kernelILj256ELj16ELj32EN6common25BlockedToStripedShuffleOpEiEvPT3_j
    .private_segment_fixed_size: 0
    .sgpr_count:     84
    .sgpr_spill_count: 0
    .symbol:         _Z20warp_exchange_kernelILj256ELj16ELj32EN6common25BlockedToStripedShuffleOpEiEvPT3_j.kd
    .uniform_work_group_size: 1
    .uses_dynamic_stack: false
    .vgpr_count:     84
    .vgpr_spill_count: 0
    .wavefront_size: 64
  - .agpr_count:     0
    .args:
      - .address_space:  global
        .offset:         0
        .size:           8
        .value_kind:     global_buffer
      - .offset:         8
        .size:           4
        .value_kind:     by_value
    .group_segment_fixed_size: 0
    .kernarg_segment_align: 8
    .kernarg_segment_size: 12
    .language:       OpenCL C
    .language_version:
      - 2
      - 0
    .max_flat_workgroup_size: 256
    .name:           _Z20warp_exchange_kernelILj256ELj32ELj32EN6common25BlockedToStripedShuffleOpEiEvPT3_j
    .private_segment_fixed_size: 144
    .sgpr_count:     18
    .sgpr_spill_count: 0
    .symbol:         _Z20warp_exchange_kernelILj256ELj32ELj32EN6common25BlockedToStripedShuffleOpEiEvPT3_j.kd
    .uniform_work_group_size: 1
    .uses_dynamic_stack: false
    .vgpr_count:     114
    .vgpr_spill_count: 0
    .wavefront_size: 64
  - .agpr_count:     0
    .args:
      - .address_space:  global
        .offset:         0
        .size:           8
        .value_kind:     global_buffer
      - .offset:         8
        .size:           4
        .value_kind:     by_value
    .group_segment_fixed_size: 0
    .kernarg_segment_align: 8
    .kernarg_segment_size: 12
    .language:       OpenCL C
    .language_version:
      - 2
      - 0
    .max_flat_workgroup_size: 256
    .name:           _Z20warp_exchange_kernelILj256ELj1ELj16EN6common25StripedToBlockedShuffleOpEiEvPT3_j
    .private_segment_fixed_size: 0
    .sgpr_count:     11
    .sgpr_spill_count: 0
    .symbol:         _Z20warp_exchange_kernelILj256ELj1ELj16EN6common25StripedToBlockedShuffleOpEiEvPT3_j.kd
    .uniform_work_group_size: 1
    .uses_dynamic_stack: false
    .vgpr_count:     4
    .vgpr_spill_count: 0
    .wavefront_size: 64
  - .agpr_count:     0
    .args:
      - .address_space:  global
        .offset:         0
        .size:           8
        .value_kind:     global_buffer
      - .offset:         8
        .size:           4
        .value_kind:     by_value
    .group_segment_fixed_size: 0
    .kernarg_segment_align: 8
    .kernarg_segment_size: 12
    .language:       OpenCL C
    .language_version:
      - 2
      - 0
    .max_flat_workgroup_size: 256
    .name:           _Z20warp_exchange_kernelILj256ELj1ELj32EN6common25StripedToBlockedShuffleOpEiEvPT3_j
    .private_segment_fixed_size: 0
    .sgpr_count:     11
    .sgpr_spill_count: 0
    .symbol:         _Z20warp_exchange_kernelILj256ELj1ELj32EN6common25StripedToBlockedShuffleOpEiEvPT3_j.kd
    .uniform_work_group_size: 1
    .uses_dynamic_stack: false
    .vgpr_count:     4
    .vgpr_spill_count: 0
    .wavefront_size: 64
  - .agpr_count:     0
    .args:
      - .address_space:  global
        .offset:         0
        .size:           8
        .value_kind:     global_buffer
      - .offset:         8
        .size:           4
        .value_kind:     by_value
    .group_segment_fixed_size: 0
    .kernarg_segment_align: 8
    .kernarg_segment_size: 12
    .language:       OpenCL C
    .language_version:
      - 2
      - 0
    .max_flat_workgroup_size: 256
    .name:           _Z20warp_exchange_kernelILj256ELj4ELj16EN6common25StripedToBlockedShuffleOpEiEvPT3_j
    .private_segment_fixed_size: 0
    .sgpr_count:     62
    .sgpr_spill_count: 0
    .symbol:         _Z20warp_exchange_kernelILj256ELj4ELj16EN6common25StripedToBlockedShuffleOpEiEvPT3_j.kd
    .uniform_work_group_size: 1
    .uses_dynamic_stack: false
    .vgpr_count:     19
    .vgpr_spill_count: 0
    .wavefront_size: 64
  - .agpr_count:     0
    .args:
      - .address_space:  global
        .offset:         0
        .size:           8
        .value_kind:     global_buffer
      - .offset:         8
        .size:           4
        .value_kind:     by_value
    .group_segment_fixed_size: 0
    .kernarg_segment_align: 8
    .kernarg_segment_size: 12
    .language:       OpenCL C
    .language_version:
      - 2
      - 0
    .max_flat_workgroup_size: 256
    .name:           _Z20warp_exchange_kernelILj256ELj4ELj32EN6common25StripedToBlockedShuffleOpEiEvPT3_j
    .private_segment_fixed_size: 0
    .sgpr_count:     12
    .sgpr_spill_count: 0
    .symbol:         _Z20warp_exchange_kernelILj256ELj4ELj32EN6common25StripedToBlockedShuffleOpEiEvPT3_j.kd
    .uniform_work_group_size: 1
    .uses_dynamic_stack: false
    .vgpr_count:     17
    .vgpr_spill_count: 0
    .wavefront_size: 64
  - .agpr_count:     0
    .args:
      - .address_space:  global
        .offset:         0
        .size:           8
        .value_kind:     global_buffer
      - .offset:         8
        .size:           4
        .value_kind:     by_value
    .group_segment_fixed_size: 0
    .kernarg_segment_align: 8
    .kernarg_segment_size: 12
    .language:       OpenCL C
    .language_version:
      - 2
      - 0
    .max_flat_workgroup_size: 256
    .name:           _Z20warp_exchange_kernelILj256ELj16ELj16EN6common25StripedToBlockedShuffleOpEiEvPT3_j
    .private_segment_fixed_size: 80
    .sgpr_count:     14
    .sgpr_spill_count: 0
    .symbol:         _Z20warp_exchange_kernelILj256ELj16ELj16EN6common25StripedToBlockedShuffleOpEiEvPT3_j.kd
    .uniform_work_group_size: 1
    .uses_dynamic_stack: false
    .vgpr_count:     50
    .vgpr_spill_count: 0
    .wavefront_size: 64
  - .agpr_count:     0
    .args:
      - .address_space:  global
        .offset:         0
        .size:           8
        .value_kind:     global_buffer
      - .offset:         8
        .size:           4
        .value_kind:     by_value
    .group_segment_fixed_size: 0
    .kernarg_segment_align: 8
    .kernarg_segment_size: 12
    .language:       OpenCL C
    .language_version:
      - 2
      - 0
    .max_flat_workgroup_size: 256
    .name:           _Z20warp_exchange_kernelILj256ELj16ELj32EN6common25StripedToBlockedShuffleOpEiEvPT3_j
    .private_segment_fixed_size: 0
    .sgpr_count:     84
    .sgpr_spill_count: 0
    .symbol:         _Z20warp_exchange_kernelILj256ELj16ELj32EN6common25StripedToBlockedShuffleOpEiEvPT3_j.kd
    .uniform_work_group_size: 1
    .uses_dynamic_stack: false
    .vgpr_count:     97
    .vgpr_spill_count: 0
    .wavefront_size: 64
  - .agpr_count:     0
    .args:
      - .address_space:  global
        .offset:         0
        .size:           8
        .value_kind:     global_buffer
      - .offset:         8
        .size:           4
        .value_kind:     by_value
    .group_segment_fixed_size: 0
    .kernarg_segment_align: 8
    .kernarg_segment_size: 12
    .language:       OpenCL C
    .language_version:
      - 2
      - 0
    .max_flat_workgroup_size: 256
    .name:           _Z20warp_exchange_kernelILj256ELj32ELj32EN6common25StripedToBlockedShuffleOpEiEvPT3_j
    .private_segment_fixed_size: 144
    .sgpr_count:     18
    .sgpr_spill_count: 0
    .symbol:         _Z20warp_exchange_kernelILj256ELj32ELj32EN6common25StripedToBlockedShuffleOpEiEvPT3_j.kd
    .uniform_work_group_size: 1
    .uses_dynamic_stack: false
    .vgpr_count:     114
    .vgpr_spill_count: 0
    .wavefront_size: 64
  - .agpr_count:     0
    .args:
      - .address_space:  global
        .offset:         0
        .size:           8
        .value_kind:     global_buffer
      - .offset:         8
        .size:           4
        .value_kind:     by_value
    .group_segment_fixed_size: 1024
    .kernarg_segment_align: 8
    .kernarg_segment_size: 12
    .language:       OpenCL C
    .language_version:
      - 2
      - 0
    .max_flat_workgroup_size: 256
    .name:           _Z20warp_exchange_kernelILj256ELj1ELj16E18ScatterToStripedOpiEvPT3_j
    .private_segment_fixed_size: 0
    .sgpr_count:     11
    .sgpr_spill_count: 0
    .symbol:         _Z20warp_exchange_kernelILj256ELj1ELj16E18ScatterToStripedOpiEvPT3_j.kd
    .uniform_work_group_size: 1
    .uses_dynamic_stack: false
    .vgpr_count:     5
    .vgpr_spill_count: 0
    .wavefront_size: 64
  - .agpr_count:     0
    .args:
      - .address_space:  global
        .offset:         0
        .size:           8
        .value_kind:     global_buffer
      - .offset:         8
        .size:           4
        .value_kind:     by_value
    .group_segment_fixed_size: 1024
    .kernarg_segment_align: 8
    .kernarg_segment_size: 12
    .language:       OpenCL C
    .language_version:
      - 2
      - 0
    .max_flat_workgroup_size: 256
    .name:           _Z20warp_exchange_kernelILj256ELj1ELj32E18ScatterToStripedOpiEvPT3_j
    .private_segment_fixed_size: 0
    .sgpr_count:     11
    .sgpr_spill_count: 0
    .symbol:         _Z20warp_exchange_kernelILj256ELj1ELj32E18ScatterToStripedOpiEvPT3_j.kd
    .uniform_work_group_size: 1
    .uses_dynamic_stack: false
    .vgpr_count:     5
    .vgpr_spill_count: 0
    .wavefront_size: 64
  - .agpr_count:     0
    .args:
      - .address_space:  global
        .offset:         0
        .size:           8
        .value_kind:     global_buffer
      - .offset:         8
        .size:           4
        .value_kind:     by_value
    .group_segment_fixed_size: 4096
    .kernarg_segment_align: 8
    .kernarg_segment_size: 12
    .language:       OpenCL C
    .language_version:
      - 2
      - 0
    .max_flat_workgroup_size: 256
    .name:           _Z20warp_exchange_kernelILj256ELj4ELj16E18ScatterToStripedOpiEvPT3_j
    .private_segment_fixed_size: 0
    .sgpr_count:     11
    .sgpr_spill_count: 0
    .symbol:         _Z20warp_exchange_kernelILj256ELj4ELj16E18ScatterToStripedOpiEvPT3_j.kd
    .uniform_work_group_size: 1
    .uses_dynamic_stack: false
    .vgpr_count:     8
    .vgpr_spill_count: 0
    .wavefront_size: 64
  - .agpr_count:     0
    .args:
      - .address_space:  global
        .offset:         0
        .size:           8
        .value_kind:     global_buffer
      - .offset:         8
        .size:           4
        .value_kind:     by_value
    .group_segment_fixed_size: 4096
    .kernarg_segment_align: 8
    .kernarg_segment_size: 12
    .language:       OpenCL C
    .language_version:
      - 2
      - 0
    .max_flat_workgroup_size: 256
    .name:           _Z20warp_exchange_kernelILj256ELj4ELj32E18ScatterToStripedOpiEvPT3_j
    .private_segment_fixed_size: 0
    .sgpr_count:     11
    .sgpr_spill_count: 0
    .symbol:         _Z20warp_exchange_kernelILj256ELj4ELj32E18ScatterToStripedOpiEvPT3_j.kd
    .uniform_work_group_size: 1
    .uses_dynamic_stack: false
    .vgpr_count:     8
    .vgpr_spill_count: 0
    .wavefront_size: 64
  - .agpr_count:     0
    .args:
      - .address_space:  global
        .offset:         0
        .size:           8
        .value_kind:     global_buffer
      - .offset:         8
        .size:           4
        .value_kind:     by_value
    .group_segment_fixed_size: 16384
    .kernarg_segment_align: 8
    .kernarg_segment_size: 12
    .language:       OpenCL C
    .language_version:
      - 2
      - 0
    .max_flat_workgroup_size: 256
    .name:           _Z20warp_exchange_kernelILj256ELj16ELj16E18ScatterToStripedOpiEvPT3_j
    .private_segment_fixed_size: 0
    .sgpr_count:     11
    .sgpr_spill_count: 0
    .symbol:         _Z20warp_exchange_kernelILj256ELj16ELj16E18ScatterToStripedOpiEvPT3_j.kd
    .uniform_work_group_size: 1
    .uses_dynamic_stack: false
    .vgpr_count:     35
    .vgpr_spill_count: 0
    .wavefront_size: 64
  - .agpr_count:     0
    .args:
      - .address_space:  global
        .offset:         0
        .size:           8
        .value_kind:     global_buffer
      - .offset:         8
        .size:           4
        .value_kind:     by_value
    .group_segment_fixed_size: 16384
    .kernarg_segment_align: 8
    .kernarg_segment_size: 12
    .language:       OpenCL C
    .language_version:
      - 2
      - 0
    .max_flat_workgroup_size: 256
    .name:           _Z20warp_exchange_kernelILj256ELj16ELj32E18ScatterToStripedOpiEvPT3_j
    .private_segment_fixed_size: 0
    .sgpr_count:     11
    .sgpr_spill_count: 0
    .symbol:         _Z20warp_exchange_kernelILj256ELj16ELj32E18ScatterToStripedOpiEvPT3_j.kd
    .uniform_work_group_size: 1
    .uses_dynamic_stack: false
    .vgpr_count:     36
    .vgpr_spill_count: 0
    .wavefront_size: 64
  - .agpr_count:     0
    .args:
      - .address_space:  global
        .offset:         0
        .size:           8
        .value_kind:     global_buffer
      - .offset:         8
        .size:           4
        .value_kind:     by_value
    .group_segment_fixed_size: 4096
    .kernarg_segment_align: 8
    .kernarg_segment_size: 12
    .language:       OpenCL C
    .language_version:
      - 2
      - 0
    .max_flat_workgroup_size: 256
    .name:           _Z20warp_exchange_kernelILj256ELj1ELj16EN6common18BlockedToStripedOpEnEvPT3_j
    .private_segment_fixed_size: 0
    .sgpr_count:     11
    .sgpr_spill_count: 0
    .symbol:         _Z20warp_exchange_kernelILj256ELj1ELj16EN6common18BlockedToStripedOpEnEvPT3_j.kd
    .uniform_work_group_size: 1
    .uses_dynamic_stack: false
    .vgpr_count:     7
    .vgpr_spill_count: 0
    .wavefront_size: 64
  - .agpr_count:     0
    .args:
      - .address_space:  global
        .offset:         0
        .size:           8
        .value_kind:     global_buffer
      - .offset:         8
        .size:           4
        .value_kind:     by_value
    .group_segment_fixed_size: 4096
    .kernarg_segment_align: 8
    .kernarg_segment_size: 12
    .language:       OpenCL C
    .language_version:
      - 2
      - 0
    .max_flat_workgroup_size: 256
    .name:           _Z20warp_exchange_kernelILj256ELj1ELj32EN6common18BlockedToStripedOpEnEvPT3_j
    .private_segment_fixed_size: 0
    .sgpr_count:     11
    .sgpr_spill_count: 0
    .symbol:         _Z20warp_exchange_kernelILj256ELj1ELj32EN6common18BlockedToStripedOpEnEvPT3_j.kd
    .uniform_work_group_size: 1
    .uses_dynamic_stack: false
    .vgpr_count:     7
    .vgpr_spill_count: 0
    .wavefront_size: 64
  - .agpr_count:     0
    .args:
      - .address_space:  global
        .offset:         0
        .size:           8
        .value_kind:     global_buffer
      - .offset:         8
        .size:           4
        .value_kind:     by_value
    .group_segment_fixed_size: 16384
    .kernarg_segment_align: 8
    .kernarg_segment_size: 12
    .language:       OpenCL C
    .language_version:
      - 2
      - 0
    .max_flat_workgroup_size: 256
    .name:           _Z20warp_exchange_kernelILj256ELj4ELj16EN6common18BlockedToStripedOpEnEvPT3_j
    .private_segment_fixed_size: 0
    .sgpr_count:     11
    .sgpr_spill_count: 0
    .symbol:         _Z20warp_exchange_kernelILj256ELj4ELj16EN6common18BlockedToStripedOpEnEvPT3_j.kd
    .uniform_work_group_size: 1
    .uses_dynamic_stack: false
    .vgpr_count:     20
    .vgpr_spill_count: 0
    .wavefront_size: 64
  - .agpr_count:     0
    .args:
      - .address_space:  global
        .offset:         0
        .size:           8
        .value_kind:     global_buffer
      - .offset:         8
        .size:           4
        .value_kind:     by_value
    .group_segment_fixed_size: 16384
    .kernarg_segment_align: 8
    .kernarg_segment_size: 12
    .language:       OpenCL C
    .language_version:
      - 2
      - 0
    .max_flat_workgroup_size: 256
    .name:           _Z20warp_exchange_kernelILj256ELj4ELj32EN6common18BlockedToStripedOpEnEvPT3_j
    .private_segment_fixed_size: 0
    .sgpr_count:     11
    .sgpr_spill_count: 0
    .symbol:         _Z20warp_exchange_kernelILj256ELj4ELj32EN6common18BlockedToStripedOpEnEvPT3_j.kd
    .uniform_work_group_size: 1
    .uses_dynamic_stack: false
    .vgpr_count:     20
    .vgpr_spill_count: 0
    .wavefront_size: 64
  - .agpr_count:     0
    .args:
      - .address_space:  global
        .offset:         0
        .size:           8
        .value_kind:     global_buffer
      - .offset:         8
        .size:           4
        .value_kind:     by_value
    .group_segment_fixed_size: 65536
    .kernarg_segment_align: 8
    .kernarg_segment_size: 12
    .language:       OpenCL C
    .language_version:
      - 2
      - 0
    .max_flat_workgroup_size: 256
    .name:           _Z20warp_exchange_kernelILj256ELj16ELj16EN6common18BlockedToStripedOpEnEvPT3_j
    .private_segment_fixed_size: 0
    .sgpr_count:     11
    .sgpr_spill_count: 0
    .symbol:         _Z20warp_exchange_kernelILj256ELj16ELj16EN6common18BlockedToStripedOpEnEvPT3_j.kd
    .uniform_work_group_size: 1
    .uses_dynamic_stack: false
    .vgpr_count:     68
    .vgpr_spill_count: 0
    .wavefront_size: 64
  - .agpr_count:     0
    .args:
      - .address_space:  global
        .offset:         0
        .size:           8
        .value_kind:     global_buffer
      - .offset:         8
        .size:           4
        .value_kind:     by_value
    .group_segment_fixed_size: 65536
    .kernarg_segment_align: 8
    .kernarg_segment_size: 12
    .language:       OpenCL C
    .language_version:
      - 2
      - 0
    .max_flat_workgroup_size: 256
    .name:           _Z20warp_exchange_kernelILj256ELj16ELj32EN6common18BlockedToStripedOpEnEvPT3_j
    .private_segment_fixed_size: 0
    .sgpr_count:     11
    .sgpr_spill_count: 0
    .symbol:         _Z20warp_exchange_kernelILj256ELj16ELj32EN6common18BlockedToStripedOpEnEvPT3_j.kd
    .uniform_work_group_size: 1
    .uses_dynamic_stack: false
    .vgpr_count:     68
    .vgpr_spill_count: 0
    .wavefront_size: 64
  - .agpr_count:     0
    .args:
      - .address_space:  global
        .offset:         0
        .size:           8
        .value_kind:     global_buffer
      - .offset:         8
        .size:           4
        .value_kind:     by_value
    .group_segment_fixed_size: 4096
    .kernarg_segment_align: 8
    .kernarg_segment_size: 12
    .language:       OpenCL C
    .language_version:
      - 2
      - 0
    .max_flat_workgroup_size: 256
    .name:           _Z20warp_exchange_kernelILj256ELj1ELj16EN6common18StripedToBlockedOpEnEvPT3_j
    .private_segment_fixed_size: 0
    .sgpr_count:     11
    .sgpr_spill_count: 0
    .symbol:         _Z20warp_exchange_kernelILj256ELj1ELj16EN6common18StripedToBlockedOpEnEvPT3_j.kd
    .uniform_work_group_size: 1
    .uses_dynamic_stack: false
    .vgpr_count:     7
    .vgpr_spill_count: 0
    .wavefront_size: 64
  - .agpr_count:     0
    .args:
      - .address_space:  global
        .offset:         0
        .size:           8
        .value_kind:     global_buffer
      - .offset:         8
        .size:           4
        .value_kind:     by_value
    .group_segment_fixed_size: 4096
    .kernarg_segment_align: 8
    .kernarg_segment_size: 12
    .language:       OpenCL C
    .language_version:
      - 2
      - 0
    .max_flat_workgroup_size: 256
    .name:           _Z20warp_exchange_kernelILj256ELj1ELj32EN6common18StripedToBlockedOpEnEvPT3_j
    .private_segment_fixed_size: 0
    .sgpr_count:     11
    .sgpr_spill_count: 0
    .symbol:         _Z20warp_exchange_kernelILj256ELj1ELj32EN6common18StripedToBlockedOpEnEvPT3_j.kd
    .uniform_work_group_size: 1
    .uses_dynamic_stack: false
    .vgpr_count:     7
    .vgpr_spill_count: 0
    .wavefront_size: 64
  - .agpr_count:     0
    .args:
      - .address_space:  global
        .offset:         0
        .size:           8
        .value_kind:     global_buffer
      - .offset:         8
        .size:           4
        .value_kind:     by_value
    .group_segment_fixed_size: 16384
    .kernarg_segment_align: 8
    .kernarg_segment_size: 12
    .language:       OpenCL C
    .language_version:
      - 2
      - 0
    .max_flat_workgroup_size: 256
    .name:           _Z20warp_exchange_kernelILj256ELj4ELj16EN6common18StripedToBlockedOpEnEvPT3_j
    .private_segment_fixed_size: 0
    .sgpr_count:     11
    .sgpr_spill_count: 0
    .symbol:         _Z20warp_exchange_kernelILj256ELj4ELj16EN6common18StripedToBlockedOpEnEvPT3_j.kd
    .uniform_work_group_size: 1
    .uses_dynamic_stack: false
    .vgpr_count:     20
    .vgpr_spill_count: 0
    .wavefront_size: 64
  - .agpr_count:     0
    .args:
      - .address_space:  global
        .offset:         0
        .size:           8
        .value_kind:     global_buffer
      - .offset:         8
        .size:           4
        .value_kind:     by_value
    .group_segment_fixed_size: 16384
    .kernarg_segment_align: 8
    .kernarg_segment_size: 12
    .language:       OpenCL C
    .language_version:
      - 2
      - 0
    .max_flat_workgroup_size: 256
    .name:           _Z20warp_exchange_kernelILj256ELj4ELj32EN6common18StripedToBlockedOpEnEvPT3_j
    .private_segment_fixed_size: 0
    .sgpr_count:     11
    .sgpr_spill_count: 0
    .symbol:         _Z20warp_exchange_kernelILj256ELj4ELj32EN6common18StripedToBlockedOpEnEvPT3_j.kd
    .uniform_work_group_size: 1
    .uses_dynamic_stack: false
    .vgpr_count:     20
    .vgpr_spill_count: 0
    .wavefront_size: 64
  - .agpr_count:     0
    .args:
      - .address_space:  global
        .offset:         0
        .size:           8
        .value_kind:     global_buffer
      - .offset:         8
        .size:           4
        .value_kind:     by_value
    .group_segment_fixed_size: 65536
    .kernarg_segment_align: 8
    .kernarg_segment_size: 12
    .language:       OpenCL C
    .language_version:
      - 2
      - 0
    .max_flat_workgroup_size: 256
    .name:           _Z20warp_exchange_kernelILj256ELj16ELj16EN6common18StripedToBlockedOpEnEvPT3_j
    .private_segment_fixed_size: 0
    .sgpr_count:     11
    .sgpr_spill_count: 0
    .symbol:         _Z20warp_exchange_kernelILj256ELj16ELj16EN6common18StripedToBlockedOpEnEvPT3_j.kd
    .uniform_work_group_size: 1
    .uses_dynamic_stack: false
    .vgpr_count:     68
    .vgpr_spill_count: 0
    .wavefront_size: 64
  - .agpr_count:     0
    .args:
      - .address_space:  global
        .offset:         0
        .size:           8
        .value_kind:     global_buffer
      - .offset:         8
        .size:           4
        .value_kind:     by_value
    .group_segment_fixed_size: 65536
    .kernarg_segment_align: 8
    .kernarg_segment_size: 12
    .language:       OpenCL C
    .language_version:
      - 2
      - 0
    .max_flat_workgroup_size: 256
    .name:           _Z20warp_exchange_kernelILj256ELj16ELj32EN6common18StripedToBlockedOpEnEvPT3_j
    .private_segment_fixed_size: 0
    .sgpr_count:     11
    .sgpr_spill_count: 0
    .symbol:         _Z20warp_exchange_kernelILj256ELj16ELj32EN6common18StripedToBlockedOpEnEvPT3_j.kd
    .uniform_work_group_size: 1
    .uses_dynamic_stack: false
    .vgpr_count:     68
    .vgpr_spill_count: 0
    .wavefront_size: 64
  - .agpr_count:     0
    .args:
      - .address_space:  global
        .offset:         0
        .size:           8
        .value_kind:     global_buffer
      - .offset:         8
        .size:           4
        .value_kind:     by_value
    .group_segment_fixed_size: 0
    .kernarg_segment_align: 8
    .kernarg_segment_size: 12
    .language:       OpenCL C
    .language_version:
      - 2
      - 0
    .max_flat_workgroup_size: 256
    .name:           _Z20warp_exchange_kernelILj256ELj1ELj16EN6common25BlockedToStripedShuffleOpEnEvPT3_j
    .private_segment_fixed_size: 0
    .sgpr_count:     11
    .sgpr_spill_count: 0
    .symbol:         _Z20warp_exchange_kernelILj256ELj1ELj16EN6common25BlockedToStripedShuffleOpEnEvPT3_j.kd
    .uniform_work_group_size: 1
    .uses_dynamic_stack: false
    .vgpr_count:     7
    .vgpr_spill_count: 0
    .wavefront_size: 64
  - .agpr_count:     0
    .args:
      - .address_space:  global
        .offset:         0
        .size:           8
        .value_kind:     global_buffer
      - .offset:         8
        .size:           4
        .value_kind:     by_value
    .group_segment_fixed_size: 0
    .kernarg_segment_align: 8
    .kernarg_segment_size: 12
    .language:       OpenCL C
    .language_version:
      - 2
      - 0
    .max_flat_workgroup_size: 256
    .name:           _Z20warp_exchange_kernelILj256ELj1ELj32EN6common25BlockedToStripedShuffleOpEnEvPT3_j
    .private_segment_fixed_size: 0
    .sgpr_count:     11
    .sgpr_spill_count: 0
    .symbol:         _Z20warp_exchange_kernelILj256ELj1ELj32EN6common25BlockedToStripedShuffleOpEnEvPT3_j.kd
    .uniform_work_group_size: 1
    .uses_dynamic_stack: false
    .vgpr_count:     7
    .vgpr_spill_count: 0
    .wavefront_size: 64
  - .agpr_count:     0
    .args:
      - .address_space:  global
        .offset:         0
        .size:           8
        .value_kind:     global_buffer
      - .offset:         8
        .size:           4
        .value_kind:     by_value
    .group_segment_fixed_size: 0
    .kernarg_segment_align: 8
    .kernarg_segment_size: 12
    .language:       OpenCL C
    .language_version:
      - 2
      - 0
    .max_flat_workgroup_size: 256
    .name:           _Z20warp_exchange_kernelILj256ELj4ELj16EN6common25BlockedToStripedShuffleOpEnEvPT3_j
    .private_segment_fixed_size: 0
    .sgpr_count:     56
    .sgpr_spill_count: 0
    .symbol:         _Z20warp_exchange_kernelILj256ELj4ELj16EN6common25BlockedToStripedShuffleOpEnEvPT3_j.kd
    .uniform_work_group_size: 1
    .uses_dynamic_stack: false
    .vgpr_count:     32
    .vgpr_spill_count: 0
    .wavefront_size: 64
  - .agpr_count:     0
    .args:
      - .address_space:  global
        .offset:         0
        .size:           8
        .value_kind:     global_buffer
      - .offset:         8
        .size:           4
        .value_kind:     by_value
    .group_segment_fixed_size: 0
    .kernarg_segment_align: 8
    .kernarg_segment_size: 12
    .language:       OpenCL C
    .language_version:
      - 2
      - 0
    .max_flat_workgroup_size: 256
    .name:           _Z20warp_exchange_kernelILj256ELj4ELj32EN6common25BlockedToStripedShuffleOpEnEvPT3_j
    .private_segment_fixed_size: 0
    .sgpr_count:     16
    .sgpr_spill_count: 0
    .symbol:         _Z20warp_exchange_kernelILj256ELj4ELj32EN6common25BlockedToStripedShuffleOpEnEvPT3_j.kd
    .uniform_work_group_size: 1
    .uses_dynamic_stack: false
    .vgpr_count:     37
    .vgpr_spill_count: 0
    .wavefront_size: 64
  - .agpr_count:     0
    .args:
      - .address_space:  global
        .offset:         0
        .size:           8
        .value_kind:     global_buffer
      - .offset:         8
        .size:           4
        .value_kind:     by_value
    .group_segment_fixed_size: 0
    .kernarg_segment_align: 8
    .kernarg_segment_size: 12
    .language:       OpenCL C
    .language_version:
      - 2
      - 0
    .max_flat_workgroup_size: 256
    .name:           _Z20warp_exchange_kernelILj256ELj16ELj16EN6common25BlockedToStripedShuffleOpEnEvPT3_j
    .private_segment_fixed_size: 272
    .sgpr_count:     14
    .sgpr_spill_count: 0
    .symbol:         _Z20warp_exchange_kernelILj256ELj16ELj16EN6common25BlockedToStripedShuffleOpEnEvPT3_j.kd
    .uniform_work_group_size: 1
    .uses_dynamic_stack: false
    .vgpr_count:     98
    .vgpr_spill_count: 0
    .wavefront_size: 64
  - .agpr_count:     0
    .args:
      - .address_space:  global
        .offset:         0
        .size:           8
        .value_kind:     global_buffer
      - .offset:         8
        .size:           4
        .value_kind:     by_value
    .group_segment_fixed_size: 0
    .kernarg_segment_align: 8
    .kernarg_segment_size: 12
    .language:       OpenCL C
    .language_version:
      - 2
      - 0
    .max_flat_workgroup_size: 256
    .name:           _Z20warp_exchange_kernelILj256ELj16ELj32EN6common25BlockedToStripedShuffleOpEnEvPT3_j
    .private_segment_fixed_size: 528
    .sgpr_count:     14
    .sgpr_spill_count: 0
    .symbol:         _Z20warp_exchange_kernelILj256ELj16ELj32EN6common25BlockedToStripedShuffleOpEnEvPT3_j.kd
    .uniform_work_group_size: 1
    .uses_dynamic_stack: false
    .vgpr_count:     109
    .vgpr_spill_count: 0
    .wavefront_size: 64
  - .agpr_count:     0
    .args:
      - .address_space:  global
        .offset:         0
        .size:           8
        .value_kind:     global_buffer
      - .offset:         8
        .size:           4
        .value_kind:     by_value
    .group_segment_fixed_size: 0
    .kernarg_segment_align: 8
    .kernarg_segment_size: 12
    .language:       OpenCL C
    .language_version:
      - 2
      - 0
    .max_flat_workgroup_size: 256
    .name:           _Z20warp_exchange_kernelILj256ELj1ELj16EN6common25StripedToBlockedShuffleOpEnEvPT3_j
    .private_segment_fixed_size: 0
    .sgpr_count:     11
    .sgpr_spill_count: 0
    .symbol:         _Z20warp_exchange_kernelILj256ELj1ELj16EN6common25StripedToBlockedShuffleOpEnEvPT3_j.kd
    .uniform_work_group_size: 1
    .uses_dynamic_stack: false
    .vgpr_count:     7
    .vgpr_spill_count: 0
    .wavefront_size: 64
  - .agpr_count:     0
    .args:
      - .address_space:  global
        .offset:         0
        .size:           8
        .value_kind:     global_buffer
      - .offset:         8
        .size:           4
        .value_kind:     by_value
    .group_segment_fixed_size: 0
    .kernarg_segment_align: 8
    .kernarg_segment_size: 12
    .language:       OpenCL C
    .language_version:
      - 2
      - 0
    .max_flat_workgroup_size: 256
    .name:           _Z20warp_exchange_kernelILj256ELj1ELj32EN6common25StripedToBlockedShuffleOpEnEvPT3_j
    .private_segment_fixed_size: 0
    .sgpr_count:     11
    .sgpr_spill_count: 0
    .symbol:         _Z20warp_exchange_kernelILj256ELj1ELj32EN6common25StripedToBlockedShuffleOpEnEvPT3_j.kd
    .uniform_work_group_size: 1
    .uses_dynamic_stack: false
    .vgpr_count:     7
    .vgpr_spill_count: 0
    .wavefront_size: 64
  - .agpr_count:     0
    .args:
      - .address_space:  global
        .offset:         0
        .size:           8
        .value_kind:     global_buffer
      - .offset:         8
        .size:           4
        .value_kind:     by_value
    .group_segment_fixed_size: 0
    .kernarg_segment_align: 8
    .kernarg_segment_size: 12
    .language:       OpenCL C
    .language_version:
      - 2
      - 0
    .max_flat_workgroup_size: 256
    .name:           _Z20warp_exchange_kernelILj256ELj4ELj16EN6common25StripedToBlockedShuffleOpEnEvPT3_j
    .private_segment_fixed_size: 144
    .sgpr_count:     14
    .sgpr_spill_count: 0
    .symbol:         _Z20warp_exchange_kernelILj256ELj4ELj16EN6common25StripedToBlockedShuffleOpEnEvPT3_j.kd
    .uniform_work_group_size: 1
    .uses_dynamic_stack: false
    .vgpr_count:     32
    .vgpr_spill_count: 0
    .wavefront_size: 64
  - .agpr_count:     0
    .args:
      - .address_space:  global
        .offset:         0
        .size:           8
        .value_kind:     global_buffer
      - .offset:         8
        .size:           4
        .value_kind:     by_value
    .group_segment_fixed_size: 0
    .kernarg_segment_align: 8
    .kernarg_segment_size: 12
    .language:       OpenCL C
    .language_version:
      - 2
      - 0
    .max_flat_workgroup_size: 256
    .name:           _Z20warp_exchange_kernelILj256ELj4ELj32EN6common25StripedToBlockedShuffleOpEnEvPT3_j
    .private_segment_fixed_size: 0
    .sgpr_count:     16
    .sgpr_spill_count: 0
    .symbol:         _Z20warp_exchange_kernelILj256ELj4ELj32EN6common25StripedToBlockedShuffleOpEnEvPT3_j.kd
    .uniform_work_group_size: 1
    .uses_dynamic_stack: false
    .vgpr_count:     37
    .vgpr_spill_count: 0
    .wavefront_size: 64
  - .agpr_count:     0
    .args:
      - .address_space:  global
        .offset:         0
        .size:           8
        .value_kind:     global_buffer
      - .offset:         8
        .size:           4
        .value_kind:     by_value
    .group_segment_fixed_size: 0
    .kernarg_segment_align: 8
    .kernarg_segment_size: 12
    .language:       OpenCL C
    .language_version:
      - 2
      - 0
    .max_flat_workgroup_size: 256
    .name:           _Z20warp_exchange_kernelILj256ELj16ELj16EN6common25StripedToBlockedShuffleOpEnEvPT3_j
    .private_segment_fixed_size: 272
    .sgpr_count:     14
    .sgpr_spill_count: 0
    .symbol:         _Z20warp_exchange_kernelILj256ELj16ELj16EN6common25StripedToBlockedShuffleOpEnEvPT3_j.kd
    .uniform_work_group_size: 1
    .uses_dynamic_stack: false
    .vgpr_count:     98
    .vgpr_spill_count: 0
    .wavefront_size: 64
  - .agpr_count:     0
    .args:
      - .address_space:  global
        .offset:         0
        .size:           8
        .value_kind:     global_buffer
      - .offset:         8
        .size:           4
        .value_kind:     by_value
    .group_segment_fixed_size: 0
    .kernarg_segment_align: 8
    .kernarg_segment_size: 12
    .language:       OpenCL C
    .language_version:
      - 2
      - 0
    .max_flat_workgroup_size: 256
    .name:           _Z20warp_exchange_kernelILj256ELj16ELj32EN6common25StripedToBlockedShuffleOpEnEvPT3_j
    .private_segment_fixed_size: 528
    .sgpr_count:     14
    .sgpr_spill_count: 0
    .symbol:         _Z20warp_exchange_kernelILj256ELj16ELj32EN6common25StripedToBlockedShuffleOpEnEvPT3_j.kd
    .uniform_work_group_size: 1
    .uses_dynamic_stack: false
    .vgpr_count:     109
    .vgpr_spill_count: 0
    .wavefront_size: 64
  - .agpr_count:     0
    .args:
      - .address_space:  global
        .offset:         0
        .size:           8
        .value_kind:     global_buffer
      - .offset:         8
        .size:           4
        .value_kind:     by_value
    .group_segment_fixed_size: 4096
    .kernarg_segment_align: 8
    .kernarg_segment_size: 12
    .language:       OpenCL C
    .language_version:
      - 2
      - 0
    .max_flat_workgroup_size: 256
    .name:           _Z20warp_exchange_kernelILj256ELj1ELj16E18ScatterToStripedOpnEvPT3_j
    .private_segment_fixed_size: 0
    .sgpr_count:     11
    .sgpr_spill_count: 0
    .symbol:         _Z20warp_exchange_kernelILj256ELj1ELj16E18ScatterToStripedOpnEvPT3_j.kd
    .uniform_work_group_size: 1
    .uses_dynamic_stack: false
    .vgpr_count:     8
    .vgpr_spill_count: 0
    .wavefront_size: 64
  - .agpr_count:     0
    .args:
      - .address_space:  global
        .offset:         0
        .size:           8
        .value_kind:     global_buffer
      - .offset:         8
        .size:           4
        .value_kind:     by_value
    .group_segment_fixed_size: 4096
    .kernarg_segment_align: 8
    .kernarg_segment_size: 12
    .language:       OpenCL C
    .language_version:
      - 2
      - 0
    .max_flat_workgroup_size: 256
    .name:           _Z20warp_exchange_kernelILj256ELj1ELj32E18ScatterToStripedOpnEvPT3_j
    .private_segment_fixed_size: 0
    .sgpr_count:     11
    .sgpr_spill_count: 0
    .symbol:         _Z20warp_exchange_kernelILj256ELj1ELj32E18ScatterToStripedOpnEvPT3_j.kd
    .uniform_work_group_size: 1
    .uses_dynamic_stack: false
    .vgpr_count:     8
    .vgpr_spill_count: 0
    .wavefront_size: 64
  - .agpr_count:     0
    .args:
      - .address_space:  global
        .offset:         0
        .size:           8
        .value_kind:     global_buffer
      - .offset:         8
        .size:           4
        .value_kind:     by_value
    .group_segment_fixed_size: 16384
    .kernarg_segment_align: 8
    .kernarg_segment_size: 12
    .language:       OpenCL C
    .language_version:
      - 2
      - 0
    .max_flat_workgroup_size: 256
    .name:           _Z20warp_exchange_kernelILj256ELj4ELj16E18ScatterToStripedOpnEvPT3_j
    .private_segment_fixed_size: 0
    .sgpr_count:     11
    .sgpr_spill_count: 0
    .symbol:         _Z20warp_exchange_kernelILj256ELj4ELj16E18ScatterToStripedOpnEvPT3_j.kd
    .uniform_work_group_size: 1
    .uses_dynamic_stack: false
    .vgpr_count:     21
    .vgpr_spill_count: 0
    .wavefront_size: 64
  - .agpr_count:     0
    .args:
      - .address_space:  global
        .offset:         0
        .size:           8
        .value_kind:     global_buffer
      - .offset:         8
        .size:           4
        .value_kind:     by_value
    .group_segment_fixed_size: 16384
    .kernarg_segment_align: 8
    .kernarg_segment_size: 12
    .language:       OpenCL C
    .language_version:
      - 2
      - 0
    .max_flat_workgroup_size: 256
    .name:           _Z20warp_exchange_kernelILj256ELj4ELj32E18ScatterToStripedOpnEvPT3_j
    .private_segment_fixed_size: 0
    .sgpr_count:     11
    .sgpr_spill_count: 0
    .symbol:         _Z20warp_exchange_kernelILj256ELj4ELj32E18ScatterToStripedOpnEvPT3_j.kd
    .uniform_work_group_size: 1
    .uses_dynamic_stack: false
    .vgpr_count:     21
    .vgpr_spill_count: 0
    .wavefront_size: 64
  - .agpr_count:     0
    .args:
      - .address_space:  global
        .offset:         0
        .size:           8
        .value_kind:     global_buffer
      - .offset:         8
        .size:           4
        .value_kind:     by_value
    .group_segment_fixed_size: 65536
    .kernarg_segment_align: 8
    .kernarg_segment_size: 12
    .language:       OpenCL C
    .language_version:
      - 2
      - 0
    .max_flat_workgroup_size: 256
    .name:           _Z20warp_exchange_kernelILj256ELj16ELj16E18ScatterToStripedOpnEvPT3_j
    .private_segment_fixed_size: 0
    .sgpr_count:     11
    .sgpr_spill_count: 0
    .symbol:         _Z20warp_exchange_kernelILj256ELj16ELj16E18ScatterToStripedOpnEvPT3_j.kd
    .uniform_work_group_size: 1
    .uses_dynamic_stack: false
    .vgpr_count:     69
    .vgpr_spill_count: 0
    .wavefront_size: 64
  - .agpr_count:     0
    .args:
      - .address_space:  global
        .offset:         0
        .size:           8
        .value_kind:     global_buffer
      - .offset:         8
        .size:           4
        .value_kind:     by_value
    .group_segment_fixed_size: 65536
    .kernarg_segment_align: 8
    .kernarg_segment_size: 12
    .language:       OpenCL C
    .language_version:
      - 2
      - 0
    .max_flat_workgroup_size: 256
    .name:           _Z20warp_exchange_kernelILj256ELj16ELj32E18ScatterToStripedOpnEvPT3_j
    .private_segment_fixed_size: 0
    .sgpr_count:     11
    .sgpr_spill_count: 0
    .symbol:         _Z20warp_exchange_kernelILj256ELj16ELj32E18ScatterToStripedOpnEvPT3_j.kd
    .uniform_work_group_size: 1
    .uses_dynamic_stack: false
    .vgpr_count:     69
    .vgpr_spill_count: 0
    .wavefront_size: 64
  - .agpr_count:     0
    .args:
      - .address_space:  global
        .offset:         0
        .size:           8
        .value_kind:     global_buffer
      - .offset:         8
        .size:           4
        .value_kind:     by_value
    .group_segment_fixed_size: 4096
    .kernarg_segment_align: 8
    .kernarg_segment_size: 12
    .language:       OpenCL C
    .language_version:
      - 2
      - 0
    .max_flat_workgroup_size: 256
    .name:           _Z20warp_exchange_kernelILj256ELj1ELj16EN6common18BlockedToStripedOpEoEvPT3_j
    .private_segment_fixed_size: 0
    .sgpr_count:     11
    .sgpr_spill_count: 0
    .symbol:         _Z20warp_exchange_kernelILj256ELj1ELj16EN6common18BlockedToStripedOpEoEvPT3_j.kd
    .uniform_work_group_size: 1
    .uses_dynamic_stack: false
    .vgpr_count:     7
    .vgpr_spill_count: 0
    .wavefront_size: 64
  - .agpr_count:     0
    .args:
      - .address_space:  global
        .offset:         0
        .size:           8
        .value_kind:     global_buffer
      - .offset:         8
        .size:           4
        .value_kind:     by_value
    .group_segment_fixed_size: 4096
    .kernarg_segment_align: 8
    .kernarg_segment_size: 12
    .language:       OpenCL C
    .language_version:
      - 2
      - 0
    .max_flat_workgroup_size: 256
    .name:           _Z20warp_exchange_kernelILj256ELj1ELj32EN6common18BlockedToStripedOpEoEvPT3_j
    .private_segment_fixed_size: 0
    .sgpr_count:     11
    .sgpr_spill_count: 0
    .symbol:         _Z20warp_exchange_kernelILj256ELj1ELj32EN6common18BlockedToStripedOpEoEvPT3_j.kd
    .uniform_work_group_size: 1
    .uses_dynamic_stack: false
    .vgpr_count:     7
    .vgpr_spill_count: 0
    .wavefront_size: 64
  - .agpr_count:     0
    .args:
      - .address_space:  global
        .offset:         0
        .size:           8
        .value_kind:     global_buffer
      - .offset:         8
        .size:           4
        .value_kind:     by_value
    .group_segment_fixed_size: 16384
    .kernarg_segment_align: 8
    .kernarg_segment_size: 12
    .language:       OpenCL C
    .language_version:
      - 2
      - 0
    .max_flat_workgroup_size: 256
    .name:           _Z20warp_exchange_kernelILj256ELj4ELj16EN6common18BlockedToStripedOpEoEvPT3_j
    .private_segment_fixed_size: 0
    .sgpr_count:     11
    .sgpr_spill_count: 0
    .symbol:         _Z20warp_exchange_kernelILj256ELj4ELj16EN6common18BlockedToStripedOpEoEvPT3_j.kd
    .uniform_work_group_size: 1
    .uses_dynamic_stack: false
    .vgpr_count:     20
    .vgpr_spill_count: 0
    .wavefront_size: 64
  - .agpr_count:     0
    .args:
      - .address_space:  global
        .offset:         0
        .size:           8
        .value_kind:     global_buffer
      - .offset:         8
        .size:           4
        .value_kind:     by_value
    .group_segment_fixed_size: 16384
    .kernarg_segment_align: 8
    .kernarg_segment_size: 12
    .language:       OpenCL C
    .language_version:
      - 2
      - 0
    .max_flat_workgroup_size: 256
    .name:           _Z20warp_exchange_kernelILj256ELj4ELj32EN6common18BlockedToStripedOpEoEvPT3_j
    .private_segment_fixed_size: 0
    .sgpr_count:     11
    .sgpr_spill_count: 0
    .symbol:         _Z20warp_exchange_kernelILj256ELj4ELj32EN6common18BlockedToStripedOpEoEvPT3_j.kd
    .uniform_work_group_size: 1
    .uses_dynamic_stack: false
    .vgpr_count:     20
    .vgpr_spill_count: 0
    .wavefront_size: 64
  - .agpr_count:     0
    .args:
      - .address_space:  global
        .offset:         0
        .size:           8
        .value_kind:     global_buffer
      - .offset:         8
        .size:           4
        .value_kind:     by_value
    .group_segment_fixed_size: 65536
    .kernarg_segment_align: 8
    .kernarg_segment_size: 12
    .language:       OpenCL C
    .language_version:
      - 2
      - 0
    .max_flat_workgroup_size: 256
    .name:           _Z20warp_exchange_kernelILj256ELj16ELj16EN6common18BlockedToStripedOpEoEvPT3_j
    .private_segment_fixed_size: 0
    .sgpr_count:     11
    .sgpr_spill_count: 0
    .symbol:         _Z20warp_exchange_kernelILj256ELj16ELj16EN6common18BlockedToStripedOpEoEvPT3_j.kd
    .uniform_work_group_size: 1
    .uses_dynamic_stack: false
    .vgpr_count:     68
    .vgpr_spill_count: 0
    .wavefront_size: 64
  - .agpr_count:     0
    .args:
      - .address_space:  global
        .offset:         0
        .size:           8
        .value_kind:     global_buffer
      - .offset:         8
        .size:           4
        .value_kind:     by_value
    .group_segment_fixed_size: 65536
    .kernarg_segment_align: 8
    .kernarg_segment_size: 12
    .language:       OpenCL C
    .language_version:
      - 2
      - 0
    .max_flat_workgroup_size: 256
    .name:           _Z20warp_exchange_kernelILj256ELj16ELj32EN6common18BlockedToStripedOpEoEvPT3_j
    .private_segment_fixed_size: 0
    .sgpr_count:     11
    .sgpr_spill_count: 0
    .symbol:         _Z20warp_exchange_kernelILj256ELj16ELj32EN6common18BlockedToStripedOpEoEvPT3_j.kd
    .uniform_work_group_size: 1
    .uses_dynamic_stack: false
    .vgpr_count:     68
    .vgpr_spill_count: 0
    .wavefront_size: 64
  - .agpr_count:     0
    .args:
      - .address_space:  global
        .offset:         0
        .size:           8
        .value_kind:     global_buffer
      - .offset:         8
        .size:           4
        .value_kind:     by_value
    .group_segment_fixed_size: 4096
    .kernarg_segment_align: 8
    .kernarg_segment_size: 12
    .language:       OpenCL C
    .language_version:
      - 2
      - 0
    .max_flat_workgroup_size: 256
    .name:           _Z20warp_exchange_kernelILj256ELj1ELj16EN6common18StripedToBlockedOpEoEvPT3_j
    .private_segment_fixed_size: 0
    .sgpr_count:     11
    .sgpr_spill_count: 0
    .symbol:         _Z20warp_exchange_kernelILj256ELj1ELj16EN6common18StripedToBlockedOpEoEvPT3_j.kd
    .uniform_work_group_size: 1
    .uses_dynamic_stack: false
    .vgpr_count:     7
    .vgpr_spill_count: 0
    .wavefront_size: 64
  - .agpr_count:     0
    .args:
      - .address_space:  global
        .offset:         0
        .size:           8
        .value_kind:     global_buffer
      - .offset:         8
        .size:           4
        .value_kind:     by_value
    .group_segment_fixed_size: 4096
    .kernarg_segment_align: 8
    .kernarg_segment_size: 12
    .language:       OpenCL C
    .language_version:
      - 2
      - 0
    .max_flat_workgroup_size: 256
    .name:           _Z20warp_exchange_kernelILj256ELj1ELj32EN6common18StripedToBlockedOpEoEvPT3_j
    .private_segment_fixed_size: 0
    .sgpr_count:     11
    .sgpr_spill_count: 0
    .symbol:         _Z20warp_exchange_kernelILj256ELj1ELj32EN6common18StripedToBlockedOpEoEvPT3_j.kd
    .uniform_work_group_size: 1
    .uses_dynamic_stack: false
    .vgpr_count:     7
    .vgpr_spill_count: 0
    .wavefront_size: 64
  - .agpr_count:     0
    .args:
      - .address_space:  global
        .offset:         0
        .size:           8
        .value_kind:     global_buffer
      - .offset:         8
        .size:           4
        .value_kind:     by_value
    .group_segment_fixed_size: 16384
    .kernarg_segment_align: 8
    .kernarg_segment_size: 12
    .language:       OpenCL C
    .language_version:
      - 2
      - 0
    .max_flat_workgroup_size: 256
    .name:           _Z20warp_exchange_kernelILj256ELj4ELj16EN6common18StripedToBlockedOpEoEvPT3_j
    .private_segment_fixed_size: 0
    .sgpr_count:     11
    .sgpr_spill_count: 0
    .symbol:         _Z20warp_exchange_kernelILj256ELj4ELj16EN6common18StripedToBlockedOpEoEvPT3_j.kd
    .uniform_work_group_size: 1
    .uses_dynamic_stack: false
    .vgpr_count:     20
    .vgpr_spill_count: 0
    .wavefront_size: 64
  - .agpr_count:     0
    .args:
      - .address_space:  global
        .offset:         0
        .size:           8
        .value_kind:     global_buffer
      - .offset:         8
        .size:           4
        .value_kind:     by_value
    .group_segment_fixed_size: 16384
    .kernarg_segment_align: 8
    .kernarg_segment_size: 12
    .language:       OpenCL C
    .language_version:
      - 2
      - 0
    .max_flat_workgroup_size: 256
    .name:           _Z20warp_exchange_kernelILj256ELj4ELj32EN6common18StripedToBlockedOpEoEvPT3_j
    .private_segment_fixed_size: 0
    .sgpr_count:     11
    .sgpr_spill_count: 0
    .symbol:         _Z20warp_exchange_kernelILj256ELj4ELj32EN6common18StripedToBlockedOpEoEvPT3_j.kd
    .uniform_work_group_size: 1
    .uses_dynamic_stack: false
    .vgpr_count:     20
    .vgpr_spill_count: 0
    .wavefront_size: 64
  - .agpr_count:     0
    .args:
      - .address_space:  global
        .offset:         0
        .size:           8
        .value_kind:     global_buffer
      - .offset:         8
        .size:           4
        .value_kind:     by_value
    .group_segment_fixed_size: 65536
    .kernarg_segment_align: 8
    .kernarg_segment_size: 12
    .language:       OpenCL C
    .language_version:
      - 2
      - 0
    .max_flat_workgroup_size: 256
    .name:           _Z20warp_exchange_kernelILj256ELj16ELj16EN6common18StripedToBlockedOpEoEvPT3_j
    .private_segment_fixed_size: 0
    .sgpr_count:     11
    .sgpr_spill_count: 0
    .symbol:         _Z20warp_exchange_kernelILj256ELj16ELj16EN6common18StripedToBlockedOpEoEvPT3_j.kd
    .uniform_work_group_size: 1
    .uses_dynamic_stack: false
    .vgpr_count:     68
    .vgpr_spill_count: 0
    .wavefront_size: 64
  - .agpr_count:     0
    .args:
      - .address_space:  global
        .offset:         0
        .size:           8
        .value_kind:     global_buffer
      - .offset:         8
        .size:           4
        .value_kind:     by_value
    .group_segment_fixed_size: 65536
    .kernarg_segment_align: 8
    .kernarg_segment_size: 12
    .language:       OpenCL C
    .language_version:
      - 2
      - 0
    .max_flat_workgroup_size: 256
    .name:           _Z20warp_exchange_kernelILj256ELj16ELj32EN6common18StripedToBlockedOpEoEvPT3_j
    .private_segment_fixed_size: 0
    .sgpr_count:     11
    .sgpr_spill_count: 0
    .symbol:         _Z20warp_exchange_kernelILj256ELj16ELj32EN6common18StripedToBlockedOpEoEvPT3_j.kd
    .uniform_work_group_size: 1
    .uses_dynamic_stack: false
    .vgpr_count:     68
    .vgpr_spill_count: 0
    .wavefront_size: 64
  - .agpr_count:     0
    .args:
      - .address_space:  global
        .offset:         0
        .size:           8
        .value_kind:     global_buffer
      - .offset:         8
        .size:           4
        .value_kind:     by_value
    .group_segment_fixed_size: 0
    .kernarg_segment_align: 8
    .kernarg_segment_size: 12
    .language:       OpenCL C
    .language_version:
      - 2
      - 0
    .max_flat_workgroup_size: 256
    .name:           _Z20warp_exchange_kernelILj256ELj1ELj16EN6common25BlockedToStripedShuffleOpEoEvPT3_j
    .private_segment_fixed_size: 0
    .sgpr_count:     11
    .sgpr_spill_count: 0
    .symbol:         _Z20warp_exchange_kernelILj256ELj1ELj16EN6common25BlockedToStripedShuffleOpEoEvPT3_j.kd
    .uniform_work_group_size: 1
    .uses_dynamic_stack: false
    .vgpr_count:     7
    .vgpr_spill_count: 0
    .wavefront_size: 64
  - .agpr_count:     0
    .args:
      - .address_space:  global
        .offset:         0
        .size:           8
        .value_kind:     global_buffer
      - .offset:         8
        .size:           4
        .value_kind:     by_value
    .group_segment_fixed_size: 0
    .kernarg_segment_align: 8
    .kernarg_segment_size: 12
    .language:       OpenCL C
    .language_version:
      - 2
      - 0
    .max_flat_workgroup_size: 256
    .name:           _Z20warp_exchange_kernelILj256ELj1ELj32EN6common25BlockedToStripedShuffleOpEoEvPT3_j
    .private_segment_fixed_size: 0
    .sgpr_count:     11
    .sgpr_spill_count: 0
    .symbol:         _Z20warp_exchange_kernelILj256ELj1ELj32EN6common25BlockedToStripedShuffleOpEoEvPT3_j.kd
    .uniform_work_group_size: 1
    .uses_dynamic_stack: false
    .vgpr_count:     7
    .vgpr_spill_count: 0
    .wavefront_size: 64
  - .agpr_count:     0
    .args:
      - .address_space:  global
        .offset:         0
        .size:           8
        .value_kind:     global_buffer
      - .offset:         8
        .size:           4
        .value_kind:     by_value
    .group_segment_fixed_size: 0
    .kernarg_segment_align: 8
    .kernarg_segment_size: 12
    .language:       OpenCL C
    .language_version:
      - 2
      - 0
    .max_flat_workgroup_size: 256
    .name:           _Z20warp_exchange_kernelILj256ELj4ELj16EN6common25BlockedToStripedShuffleOpEoEvPT3_j
    .private_segment_fixed_size: 0
    .sgpr_count:     56
    .sgpr_spill_count: 0
    .symbol:         _Z20warp_exchange_kernelILj256ELj4ELj16EN6common25BlockedToStripedShuffleOpEoEvPT3_j.kd
    .uniform_work_group_size: 1
    .uses_dynamic_stack: false
    .vgpr_count:     32
    .vgpr_spill_count: 0
    .wavefront_size: 64
  - .agpr_count:     0
    .args:
      - .address_space:  global
        .offset:         0
        .size:           8
        .value_kind:     global_buffer
      - .offset:         8
        .size:           4
        .value_kind:     by_value
    .group_segment_fixed_size: 0
    .kernarg_segment_align: 8
    .kernarg_segment_size: 12
    .language:       OpenCL C
    .language_version:
      - 2
      - 0
    .max_flat_workgroup_size: 256
    .name:           _Z20warp_exchange_kernelILj256ELj4ELj32EN6common25BlockedToStripedShuffleOpEoEvPT3_j
    .private_segment_fixed_size: 0
    .sgpr_count:     16
    .sgpr_spill_count: 0
    .symbol:         _Z20warp_exchange_kernelILj256ELj4ELj32EN6common25BlockedToStripedShuffleOpEoEvPT3_j.kd
    .uniform_work_group_size: 1
    .uses_dynamic_stack: false
    .vgpr_count:     37
    .vgpr_spill_count: 0
    .wavefront_size: 64
  - .agpr_count:     0
    .args:
      - .address_space:  global
        .offset:         0
        .size:           8
        .value_kind:     global_buffer
      - .offset:         8
        .size:           4
        .value_kind:     by_value
    .group_segment_fixed_size: 0
    .kernarg_segment_align: 8
    .kernarg_segment_size: 12
    .language:       OpenCL C
    .language_version:
      - 2
      - 0
    .max_flat_workgroup_size: 256
    .name:           _Z20warp_exchange_kernelILj256ELj16ELj16EN6common25BlockedToStripedShuffleOpEoEvPT3_j
    .private_segment_fixed_size: 272
    .sgpr_count:     14
    .sgpr_spill_count: 0
    .symbol:         _Z20warp_exchange_kernelILj256ELj16ELj16EN6common25BlockedToStripedShuffleOpEoEvPT3_j.kd
    .uniform_work_group_size: 1
    .uses_dynamic_stack: false
    .vgpr_count:     98
    .vgpr_spill_count: 0
    .wavefront_size: 64
  - .agpr_count:     0
    .args:
      - .address_space:  global
        .offset:         0
        .size:           8
        .value_kind:     global_buffer
      - .offset:         8
        .size:           4
        .value_kind:     by_value
    .group_segment_fixed_size: 0
    .kernarg_segment_align: 8
    .kernarg_segment_size: 12
    .language:       OpenCL C
    .language_version:
      - 2
      - 0
    .max_flat_workgroup_size: 256
    .name:           _Z20warp_exchange_kernelILj256ELj16ELj32EN6common25BlockedToStripedShuffleOpEoEvPT3_j
    .private_segment_fixed_size: 528
    .sgpr_count:     14
    .sgpr_spill_count: 0
    .symbol:         _Z20warp_exchange_kernelILj256ELj16ELj32EN6common25BlockedToStripedShuffleOpEoEvPT3_j.kd
    .uniform_work_group_size: 1
    .uses_dynamic_stack: false
    .vgpr_count:     109
    .vgpr_spill_count: 0
    .wavefront_size: 64
  - .agpr_count:     0
    .args:
      - .address_space:  global
        .offset:         0
        .size:           8
        .value_kind:     global_buffer
      - .offset:         8
        .size:           4
        .value_kind:     by_value
    .group_segment_fixed_size: 0
    .kernarg_segment_align: 8
    .kernarg_segment_size: 12
    .language:       OpenCL C
    .language_version:
      - 2
      - 0
    .max_flat_workgroup_size: 256
    .name:           _Z20warp_exchange_kernelILj256ELj1ELj16EN6common25StripedToBlockedShuffleOpEoEvPT3_j
    .private_segment_fixed_size: 0
    .sgpr_count:     11
    .sgpr_spill_count: 0
    .symbol:         _Z20warp_exchange_kernelILj256ELj1ELj16EN6common25StripedToBlockedShuffleOpEoEvPT3_j.kd
    .uniform_work_group_size: 1
    .uses_dynamic_stack: false
    .vgpr_count:     7
    .vgpr_spill_count: 0
    .wavefront_size: 64
  - .agpr_count:     0
    .args:
      - .address_space:  global
        .offset:         0
        .size:           8
        .value_kind:     global_buffer
      - .offset:         8
        .size:           4
        .value_kind:     by_value
    .group_segment_fixed_size: 0
    .kernarg_segment_align: 8
    .kernarg_segment_size: 12
    .language:       OpenCL C
    .language_version:
      - 2
      - 0
    .max_flat_workgroup_size: 256
    .name:           _Z20warp_exchange_kernelILj256ELj1ELj32EN6common25StripedToBlockedShuffleOpEoEvPT3_j
    .private_segment_fixed_size: 0
    .sgpr_count:     11
    .sgpr_spill_count: 0
    .symbol:         _Z20warp_exchange_kernelILj256ELj1ELj32EN6common25StripedToBlockedShuffleOpEoEvPT3_j.kd
    .uniform_work_group_size: 1
    .uses_dynamic_stack: false
    .vgpr_count:     7
    .vgpr_spill_count: 0
    .wavefront_size: 64
  - .agpr_count:     0
    .args:
      - .address_space:  global
        .offset:         0
        .size:           8
        .value_kind:     global_buffer
      - .offset:         8
        .size:           4
        .value_kind:     by_value
    .group_segment_fixed_size: 0
    .kernarg_segment_align: 8
    .kernarg_segment_size: 12
    .language:       OpenCL C
    .language_version:
      - 2
      - 0
    .max_flat_workgroup_size: 256
    .name:           _Z20warp_exchange_kernelILj256ELj4ELj16EN6common25StripedToBlockedShuffleOpEoEvPT3_j
    .private_segment_fixed_size: 144
    .sgpr_count:     14
    .sgpr_spill_count: 0
    .symbol:         _Z20warp_exchange_kernelILj256ELj4ELj16EN6common25StripedToBlockedShuffleOpEoEvPT3_j.kd
    .uniform_work_group_size: 1
    .uses_dynamic_stack: false
    .vgpr_count:     32
    .vgpr_spill_count: 0
    .wavefront_size: 64
  - .agpr_count:     0
    .args:
      - .address_space:  global
        .offset:         0
        .size:           8
        .value_kind:     global_buffer
      - .offset:         8
        .size:           4
        .value_kind:     by_value
    .group_segment_fixed_size: 0
    .kernarg_segment_align: 8
    .kernarg_segment_size: 12
    .language:       OpenCL C
    .language_version:
      - 2
      - 0
    .max_flat_workgroup_size: 256
    .name:           _Z20warp_exchange_kernelILj256ELj4ELj32EN6common25StripedToBlockedShuffleOpEoEvPT3_j
    .private_segment_fixed_size: 0
    .sgpr_count:     16
    .sgpr_spill_count: 0
    .symbol:         _Z20warp_exchange_kernelILj256ELj4ELj32EN6common25StripedToBlockedShuffleOpEoEvPT3_j.kd
    .uniform_work_group_size: 1
    .uses_dynamic_stack: false
    .vgpr_count:     37
    .vgpr_spill_count: 0
    .wavefront_size: 64
  - .agpr_count:     0
    .args:
      - .address_space:  global
        .offset:         0
        .size:           8
        .value_kind:     global_buffer
      - .offset:         8
        .size:           4
        .value_kind:     by_value
    .group_segment_fixed_size: 0
    .kernarg_segment_align: 8
    .kernarg_segment_size: 12
    .language:       OpenCL C
    .language_version:
      - 2
      - 0
    .max_flat_workgroup_size: 256
    .name:           _Z20warp_exchange_kernelILj256ELj16ELj16EN6common25StripedToBlockedShuffleOpEoEvPT3_j
    .private_segment_fixed_size: 272
    .sgpr_count:     14
    .sgpr_spill_count: 0
    .symbol:         _Z20warp_exchange_kernelILj256ELj16ELj16EN6common25StripedToBlockedShuffleOpEoEvPT3_j.kd
    .uniform_work_group_size: 1
    .uses_dynamic_stack: false
    .vgpr_count:     98
    .vgpr_spill_count: 0
    .wavefront_size: 64
  - .agpr_count:     0
    .args:
      - .address_space:  global
        .offset:         0
        .size:           8
        .value_kind:     global_buffer
      - .offset:         8
        .size:           4
        .value_kind:     by_value
    .group_segment_fixed_size: 0
    .kernarg_segment_align: 8
    .kernarg_segment_size: 12
    .language:       OpenCL C
    .language_version:
      - 2
      - 0
    .max_flat_workgroup_size: 256
    .name:           _Z20warp_exchange_kernelILj256ELj16ELj32EN6common25StripedToBlockedShuffleOpEoEvPT3_j
    .private_segment_fixed_size: 528
    .sgpr_count:     14
    .sgpr_spill_count: 0
    .symbol:         _Z20warp_exchange_kernelILj256ELj16ELj32EN6common25StripedToBlockedShuffleOpEoEvPT3_j.kd
    .uniform_work_group_size: 1
    .uses_dynamic_stack: false
    .vgpr_count:     109
    .vgpr_spill_count: 0
    .wavefront_size: 64
  - .agpr_count:     0
    .args:
      - .address_space:  global
        .offset:         0
        .size:           8
        .value_kind:     global_buffer
      - .offset:         8
        .size:           4
        .value_kind:     by_value
    .group_segment_fixed_size: 4096
    .kernarg_segment_align: 8
    .kernarg_segment_size: 12
    .language:       OpenCL C
    .language_version:
      - 2
      - 0
    .max_flat_workgroup_size: 256
    .name:           _Z20warp_exchange_kernelILj256ELj1ELj16E18ScatterToStripedOpoEvPT3_j
    .private_segment_fixed_size: 0
    .sgpr_count:     11
    .sgpr_spill_count: 0
    .symbol:         _Z20warp_exchange_kernelILj256ELj1ELj16E18ScatterToStripedOpoEvPT3_j.kd
    .uniform_work_group_size: 1
    .uses_dynamic_stack: false
    .vgpr_count:     8
    .vgpr_spill_count: 0
    .wavefront_size: 64
  - .agpr_count:     0
    .args:
      - .address_space:  global
        .offset:         0
        .size:           8
        .value_kind:     global_buffer
      - .offset:         8
        .size:           4
        .value_kind:     by_value
    .group_segment_fixed_size: 4096
    .kernarg_segment_align: 8
    .kernarg_segment_size: 12
    .language:       OpenCL C
    .language_version:
      - 2
      - 0
    .max_flat_workgroup_size: 256
    .name:           _Z20warp_exchange_kernelILj256ELj1ELj32E18ScatterToStripedOpoEvPT3_j
    .private_segment_fixed_size: 0
    .sgpr_count:     11
    .sgpr_spill_count: 0
    .symbol:         _Z20warp_exchange_kernelILj256ELj1ELj32E18ScatterToStripedOpoEvPT3_j.kd
    .uniform_work_group_size: 1
    .uses_dynamic_stack: false
    .vgpr_count:     8
    .vgpr_spill_count: 0
    .wavefront_size: 64
  - .agpr_count:     0
    .args:
      - .address_space:  global
        .offset:         0
        .size:           8
        .value_kind:     global_buffer
      - .offset:         8
        .size:           4
        .value_kind:     by_value
    .group_segment_fixed_size: 16384
    .kernarg_segment_align: 8
    .kernarg_segment_size: 12
    .language:       OpenCL C
    .language_version:
      - 2
      - 0
    .max_flat_workgroup_size: 256
    .name:           _Z20warp_exchange_kernelILj256ELj4ELj16E18ScatterToStripedOpoEvPT3_j
    .private_segment_fixed_size: 0
    .sgpr_count:     11
    .sgpr_spill_count: 0
    .symbol:         _Z20warp_exchange_kernelILj256ELj4ELj16E18ScatterToStripedOpoEvPT3_j.kd
    .uniform_work_group_size: 1
    .uses_dynamic_stack: false
    .vgpr_count:     21
    .vgpr_spill_count: 0
    .wavefront_size: 64
  - .agpr_count:     0
    .args:
      - .address_space:  global
        .offset:         0
        .size:           8
        .value_kind:     global_buffer
      - .offset:         8
        .size:           4
        .value_kind:     by_value
    .group_segment_fixed_size: 16384
    .kernarg_segment_align: 8
    .kernarg_segment_size: 12
    .language:       OpenCL C
    .language_version:
      - 2
      - 0
    .max_flat_workgroup_size: 256
    .name:           _Z20warp_exchange_kernelILj256ELj4ELj32E18ScatterToStripedOpoEvPT3_j
    .private_segment_fixed_size: 0
    .sgpr_count:     11
    .sgpr_spill_count: 0
    .symbol:         _Z20warp_exchange_kernelILj256ELj4ELj32E18ScatterToStripedOpoEvPT3_j.kd
    .uniform_work_group_size: 1
    .uses_dynamic_stack: false
    .vgpr_count:     21
    .vgpr_spill_count: 0
    .wavefront_size: 64
  - .agpr_count:     0
    .args:
      - .address_space:  global
        .offset:         0
        .size:           8
        .value_kind:     global_buffer
      - .offset:         8
        .size:           4
        .value_kind:     by_value
    .group_segment_fixed_size: 65536
    .kernarg_segment_align: 8
    .kernarg_segment_size: 12
    .language:       OpenCL C
    .language_version:
      - 2
      - 0
    .max_flat_workgroup_size: 256
    .name:           _Z20warp_exchange_kernelILj256ELj16ELj16E18ScatterToStripedOpoEvPT3_j
    .private_segment_fixed_size: 0
    .sgpr_count:     11
    .sgpr_spill_count: 0
    .symbol:         _Z20warp_exchange_kernelILj256ELj16ELj16E18ScatterToStripedOpoEvPT3_j.kd
    .uniform_work_group_size: 1
    .uses_dynamic_stack: false
    .vgpr_count:     69
    .vgpr_spill_count: 0
    .wavefront_size: 64
  - .agpr_count:     0
    .args:
      - .address_space:  global
        .offset:         0
        .size:           8
        .value_kind:     global_buffer
      - .offset:         8
        .size:           4
        .value_kind:     by_value
    .group_segment_fixed_size: 65536
    .kernarg_segment_align: 8
    .kernarg_segment_size: 12
    .language:       OpenCL C
    .language_version:
      - 2
      - 0
    .max_flat_workgroup_size: 256
    .name:           _Z20warp_exchange_kernelILj256ELj16ELj32E18ScatterToStripedOpoEvPT3_j
    .private_segment_fixed_size: 0
    .sgpr_count:     11
    .sgpr_spill_count: 0
    .symbol:         _Z20warp_exchange_kernelILj256ELj16ELj32E18ScatterToStripedOpoEvPT3_j.kd
    .uniform_work_group_size: 1
    .uses_dynamic_stack: false
    .vgpr_count:     69
    .vgpr_spill_count: 0
    .wavefront_size: 64
  - .agpr_count:     0
    .args:
      - .address_space:  global
        .offset:         0
        .size:           8
        .value_kind:     global_buffer
      - .offset:         8
        .size:           4
        .value_kind:     by_value
    .group_segment_fixed_size: 1024
    .kernarg_segment_align: 8
    .kernarg_segment_size: 12
    .language:       OpenCL C
    .language_version:
      - 2
      - 0
    .max_flat_workgroup_size: 256
    .name:           _Z20warp_exchange_kernelILj256ELj1ELj64EN6common18BlockedToStripedOpEiEvPT3_j
    .private_segment_fixed_size: 0
    .sgpr_count:     11
    .sgpr_spill_count: 0
    .symbol:         _Z20warp_exchange_kernelILj256ELj1ELj64EN6common18BlockedToStripedOpEiEvPT3_j.kd
    .uniform_work_group_size: 1
    .uses_dynamic_stack: false
    .vgpr_count:     4
    .vgpr_spill_count: 0
    .wavefront_size: 64
  - .agpr_count:     0
    .args:
      - .address_space:  global
        .offset:         0
        .size:           8
        .value_kind:     global_buffer
      - .offset:         8
        .size:           4
        .value_kind:     by_value
    .group_segment_fixed_size: 4096
    .kernarg_segment_align: 8
    .kernarg_segment_size: 12
    .language:       OpenCL C
    .language_version:
      - 2
      - 0
    .max_flat_workgroup_size: 256
    .name:           _Z20warp_exchange_kernelILj256ELj4ELj64EN6common18BlockedToStripedOpEiEvPT3_j
    .private_segment_fixed_size: 0
    .sgpr_count:     11
    .sgpr_spill_count: 0
    .symbol:         _Z20warp_exchange_kernelILj256ELj4ELj64EN6common18BlockedToStripedOpEiEvPT3_j.kd
    .uniform_work_group_size: 1
    .uses_dynamic_stack: false
    .vgpr_count:     8
    .vgpr_spill_count: 0
    .wavefront_size: 64
  - .agpr_count:     0
    .args:
      - .address_space:  global
        .offset:         0
        .size:           8
        .value_kind:     global_buffer
      - .offset:         8
        .size:           4
        .value_kind:     by_value
    .group_segment_fixed_size: 16384
    .kernarg_segment_align: 8
    .kernarg_segment_size: 12
    .language:       OpenCL C
    .language_version:
      - 2
      - 0
    .max_flat_workgroup_size: 256
    .name:           _Z20warp_exchange_kernelILj256ELj16ELj64EN6common18BlockedToStripedOpEiEvPT3_j
    .private_segment_fixed_size: 0
    .sgpr_count:     11
    .sgpr_spill_count: 0
    .symbol:         _Z20warp_exchange_kernelILj256ELj16ELj64EN6common18BlockedToStripedOpEiEvPT3_j.kd
    .uniform_work_group_size: 1
    .uses_dynamic_stack: false
    .vgpr_count:     34
    .vgpr_spill_count: 0
    .wavefront_size: 64
  - .agpr_count:     0
    .args:
      - .address_space:  global
        .offset:         0
        .size:           8
        .value_kind:     global_buffer
      - .offset:         8
        .size:           4
        .value_kind:     by_value
    .group_segment_fixed_size: 65536
    .kernarg_segment_align: 8
    .kernarg_segment_size: 12
    .language:       OpenCL C
    .language_version:
      - 2
      - 0
    .max_flat_workgroup_size: 256
    .name:           _Z20warp_exchange_kernelILj256ELj64ELj64EN6common18BlockedToStripedOpEiEvPT3_j
    .private_segment_fixed_size: 0
    .sgpr_count:     11
    .sgpr_spill_count: 0
    .symbol:         _Z20warp_exchange_kernelILj256ELj64ELj64EN6common18BlockedToStripedOpEiEvPT3_j.kd
    .uniform_work_group_size: 1
    .uses_dynamic_stack: false
    .vgpr_count:     130
    .vgpr_spill_count: 0
    .wavefront_size: 64
  - .agpr_count:     0
    .args:
      - .address_space:  global
        .offset:         0
        .size:           8
        .value_kind:     global_buffer
      - .offset:         8
        .size:           4
        .value_kind:     by_value
    .group_segment_fixed_size: 1024
    .kernarg_segment_align: 8
    .kernarg_segment_size: 12
    .language:       OpenCL C
    .language_version:
      - 2
      - 0
    .max_flat_workgroup_size: 256
    .name:           _Z20warp_exchange_kernelILj256ELj1ELj64EN6common18StripedToBlockedOpEiEvPT3_j
    .private_segment_fixed_size: 0
    .sgpr_count:     11
    .sgpr_spill_count: 0
    .symbol:         _Z20warp_exchange_kernelILj256ELj1ELj64EN6common18StripedToBlockedOpEiEvPT3_j.kd
    .uniform_work_group_size: 1
    .uses_dynamic_stack: false
    .vgpr_count:     4
    .vgpr_spill_count: 0
    .wavefront_size: 64
  - .agpr_count:     0
    .args:
      - .address_space:  global
        .offset:         0
        .size:           8
        .value_kind:     global_buffer
      - .offset:         8
        .size:           4
        .value_kind:     by_value
    .group_segment_fixed_size: 4096
    .kernarg_segment_align: 8
    .kernarg_segment_size: 12
    .language:       OpenCL C
    .language_version:
      - 2
      - 0
    .max_flat_workgroup_size: 256
    .name:           _Z20warp_exchange_kernelILj256ELj4ELj64EN6common18StripedToBlockedOpEiEvPT3_j
    .private_segment_fixed_size: 0
    .sgpr_count:     11
    .sgpr_spill_count: 0
    .symbol:         _Z20warp_exchange_kernelILj256ELj4ELj64EN6common18StripedToBlockedOpEiEvPT3_j.kd
    .uniform_work_group_size: 1
    .uses_dynamic_stack: false
    .vgpr_count:     8
    .vgpr_spill_count: 0
    .wavefront_size: 64
  - .agpr_count:     0
    .args:
      - .address_space:  global
        .offset:         0
        .size:           8
        .value_kind:     global_buffer
      - .offset:         8
        .size:           4
        .value_kind:     by_value
    .group_segment_fixed_size: 16384
    .kernarg_segment_align: 8
    .kernarg_segment_size: 12
    .language:       OpenCL C
    .language_version:
      - 2
      - 0
    .max_flat_workgroup_size: 256
    .name:           _Z20warp_exchange_kernelILj256ELj16ELj64EN6common18StripedToBlockedOpEiEvPT3_j
    .private_segment_fixed_size: 0
    .sgpr_count:     11
    .sgpr_spill_count: 0
    .symbol:         _Z20warp_exchange_kernelILj256ELj16ELj64EN6common18StripedToBlockedOpEiEvPT3_j.kd
    .uniform_work_group_size: 1
    .uses_dynamic_stack: false
    .vgpr_count:     20
    .vgpr_spill_count: 0
    .wavefront_size: 64
  - .agpr_count:     0
    .args:
      - .address_space:  global
        .offset:         0
        .size:           8
        .value_kind:     global_buffer
      - .offset:         8
        .size:           4
        .value_kind:     by_value
    .group_segment_fixed_size: 65536
    .kernarg_segment_align: 8
    .kernarg_segment_size: 12
    .language:       OpenCL C
    .language_version:
      - 2
      - 0
    .max_flat_workgroup_size: 256
    .name:           _Z20warp_exchange_kernelILj256ELj64ELj64EN6common18StripedToBlockedOpEiEvPT3_j
    .private_segment_fixed_size: 0
    .sgpr_count:     11
    .sgpr_spill_count: 0
    .symbol:         _Z20warp_exchange_kernelILj256ELj64ELj64EN6common18StripedToBlockedOpEiEvPT3_j.kd
    .uniform_work_group_size: 1
    .uses_dynamic_stack: false
    .vgpr_count:     68
    .vgpr_spill_count: 0
    .wavefront_size: 64
  - .agpr_count:     0
    .args:
      - .address_space:  global
        .offset:         0
        .size:           8
        .value_kind:     global_buffer
      - .offset:         8
        .size:           4
        .value_kind:     by_value
    .group_segment_fixed_size: 0
    .kernarg_segment_align: 8
    .kernarg_segment_size: 12
    .language:       OpenCL C
    .language_version:
      - 2
      - 0
    .max_flat_workgroup_size: 256
    .name:           _Z20warp_exchange_kernelILj256ELj1ELj64EN6common25BlockedToStripedShuffleOpEiEvPT3_j
    .private_segment_fixed_size: 0
    .sgpr_count:     11
    .sgpr_spill_count: 0
    .symbol:         _Z20warp_exchange_kernelILj256ELj1ELj64EN6common25BlockedToStripedShuffleOpEiEvPT3_j.kd
    .uniform_work_group_size: 1
    .uses_dynamic_stack: false
    .vgpr_count:     4
    .vgpr_spill_count: 0
    .wavefront_size: 64
  - .agpr_count:     0
    .args:
      - .address_space:  global
        .offset:         0
        .size:           8
        .value_kind:     global_buffer
      - .offset:         8
        .size:           4
        .value_kind:     by_value
    .group_segment_fixed_size: 0
    .kernarg_segment_align: 8
    .kernarg_segment_size: 12
    .language:       OpenCL C
    .language_version:
      - 2
      - 0
    .max_flat_workgroup_size: 256
    .name:           _Z20warp_exchange_kernelILj256ELj4ELj64EN6common25BlockedToStripedShuffleOpEiEvPT3_j
    .private_segment_fixed_size: 0
    .sgpr_count:     12
    .sgpr_spill_count: 0
    .symbol:         _Z20warp_exchange_kernelILj256ELj4ELj64EN6common25BlockedToStripedShuffleOpEiEvPT3_j.kd
    .uniform_work_group_size: 1
    .uses_dynamic_stack: false
    .vgpr_count:     17
    .vgpr_spill_count: 0
    .wavefront_size: 64
  - .agpr_count:     0
    .args:
      - .address_space:  global
        .offset:         0
        .size:           8
        .value_kind:     global_buffer
      - .offset:         8
        .size:           4
        .value_kind:     by_value
    .group_segment_fixed_size: 0
    .kernarg_segment_align: 8
    .kernarg_segment_size: 12
    .language:       OpenCL C
    .language_version:
      - 2
      - 0
    .max_flat_workgroup_size: 256
    .name:           _Z20warp_exchange_kernelILj256ELj16ELj64EN6common25BlockedToStripedShuffleOpEiEvPT3_j
    .private_segment_fixed_size: 0
    .sgpr_count:     84
    .sgpr_spill_count: 0
    .symbol:         _Z20warp_exchange_kernelILj256ELj16ELj64EN6common25BlockedToStripedShuffleOpEiEvPT3_j.kd
    .uniform_work_group_size: 1
    .uses_dynamic_stack: false
    .vgpr_count:     92
    .vgpr_spill_count: 0
    .wavefront_size: 64
  - .agpr_count:     3
    .args:
      - .address_space:  global
        .offset:         0
        .size:           8
        .value_kind:     global_buffer
      - .offset:         8
        .size:           4
        .value_kind:     by_value
    .group_segment_fixed_size: 0
    .kernarg_segment_align: 8
    .kernarg_segment_size: 12
    .language:       OpenCL C
    .language_version:
      - 2
      - 0
    .max_flat_workgroup_size: 256
    .name:           _Z20warp_exchange_kernelILj256ELj64ELj64EN6common25BlockedToStripedShuffleOpEiEvPT3_j
    .private_segment_fixed_size: 272
    .sgpr_count:     22
    .sgpr_spill_count: 0
    .symbol:         _Z20warp_exchange_kernelILj256ELj64ELj64EN6common25BlockedToStripedShuffleOpEiEvPT3_j.kd
    .uniform_work_group_size: 1
    .uses_dynamic_stack: false
    .vgpr_count:     259
    .vgpr_spill_count: 0
    .wavefront_size: 64
  - .agpr_count:     0
    .args:
      - .address_space:  global
        .offset:         0
        .size:           8
        .value_kind:     global_buffer
      - .offset:         8
        .size:           4
        .value_kind:     by_value
    .group_segment_fixed_size: 0
    .kernarg_segment_align: 8
    .kernarg_segment_size: 12
    .language:       OpenCL C
    .language_version:
      - 2
      - 0
    .max_flat_workgroup_size: 256
    .name:           _Z20warp_exchange_kernelILj256ELj1ELj64EN6common25StripedToBlockedShuffleOpEiEvPT3_j
    .private_segment_fixed_size: 0
    .sgpr_count:     11
    .sgpr_spill_count: 0
    .symbol:         _Z20warp_exchange_kernelILj256ELj1ELj64EN6common25StripedToBlockedShuffleOpEiEvPT3_j.kd
    .uniform_work_group_size: 1
    .uses_dynamic_stack: false
    .vgpr_count:     4
    .vgpr_spill_count: 0
    .wavefront_size: 64
  - .agpr_count:     0
    .args:
      - .address_space:  global
        .offset:         0
        .size:           8
        .value_kind:     global_buffer
      - .offset:         8
        .size:           4
        .value_kind:     by_value
    .group_segment_fixed_size: 0
    .kernarg_segment_align: 8
    .kernarg_segment_size: 12
    .language:       OpenCL C
    .language_version:
      - 2
      - 0
    .max_flat_workgroup_size: 256
    .name:           _Z20warp_exchange_kernelILj256ELj4ELj64EN6common25StripedToBlockedShuffleOpEiEvPT3_j
    .private_segment_fixed_size: 0
    .sgpr_count:     12
    .sgpr_spill_count: 0
    .symbol:         _Z20warp_exchange_kernelILj256ELj4ELj64EN6common25StripedToBlockedShuffleOpEiEvPT3_j.kd
    .uniform_work_group_size: 1
    .uses_dynamic_stack: false
    .vgpr_count:     17
    .vgpr_spill_count: 0
    .wavefront_size: 64
  - .agpr_count:     0
    .args:
      - .address_space:  global
        .offset:         0
        .size:           8
        .value_kind:     global_buffer
      - .offset:         8
        .size:           4
        .value_kind:     by_value
    .group_segment_fixed_size: 0
    .kernarg_segment_align: 8
    .kernarg_segment_size: 12
    .language:       OpenCL C
    .language_version:
      - 2
      - 0
    .max_flat_workgroup_size: 256
    .name:           _Z20warp_exchange_kernelILj256ELj16ELj64EN6common25StripedToBlockedShuffleOpEiEvPT3_j
    .private_segment_fixed_size: 0
    .sgpr_count:     84
    .sgpr_spill_count: 0
    .symbol:         _Z20warp_exchange_kernelILj256ELj16ELj64EN6common25StripedToBlockedShuffleOpEiEvPT3_j.kd
    .uniform_work_group_size: 1
    .uses_dynamic_stack: false
    .vgpr_count:     109
    .vgpr_spill_count: 0
    .wavefront_size: 64
  - .agpr_count:     3
    .args:
      - .address_space:  global
        .offset:         0
        .size:           8
        .value_kind:     global_buffer
      - .offset:         8
        .size:           4
        .value_kind:     by_value
    .group_segment_fixed_size: 0
    .kernarg_segment_align: 8
    .kernarg_segment_size: 12
    .language:       OpenCL C
    .language_version:
      - 2
      - 0
    .max_flat_workgroup_size: 256
    .name:           _Z20warp_exchange_kernelILj256ELj64ELj64EN6common25StripedToBlockedShuffleOpEiEvPT3_j
    .private_segment_fixed_size: 272
    .sgpr_count:     22
    .sgpr_spill_count: 0
    .symbol:         _Z20warp_exchange_kernelILj256ELj64ELj64EN6common25StripedToBlockedShuffleOpEiEvPT3_j.kd
    .uniform_work_group_size: 1
    .uses_dynamic_stack: false
    .vgpr_count:     259
    .vgpr_spill_count: 0
    .wavefront_size: 64
  - .agpr_count:     0
    .args:
      - .address_space:  global
        .offset:         0
        .size:           8
        .value_kind:     global_buffer
      - .offset:         8
        .size:           4
        .value_kind:     by_value
    .group_segment_fixed_size: 1024
    .kernarg_segment_align: 8
    .kernarg_segment_size: 12
    .language:       OpenCL C
    .language_version:
      - 2
      - 0
    .max_flat_workgroup_size: 256
    .name:           _Z20warp_exchange_kernelILj256ELj1ELj64E18ScatterToStripedOpiEvPT3_j
    .private_segment_fixed_size: 0
    .sgpr_count:     11
    .sgpr_spill_count: 0
    .symbol:         _Z20warp_exchange_kernelILj256ELj1ELj64E18ScatterToStripedOpiEvPT3_j.kd
    .uniform_work_group_size: 1
    .uses_dynamic_stack: false
    .vgpr_count:     5
    .vgpr_spill_count: 0
    .wavefront_size: 64
  - .agpr_count:     0
    .args:
      - .address_space:  global
        .offset:         0
        .size:           8
        .value_kind:     global_buffer
      - .offset:         8
        .size:           4
        .value_kind:     by_value
    .group_segment_fixed_size: 4096
    .kernarg_segment_align: 8
    .kernarg_segment_size: 12
    .language:       OpenCL C
    .language_version:
      - 2
      - 0
    .max_flat_workgroup_size: 256
    .name:           _Z20warp_exchange_kernelILj256ELj4ELj64E18ScatterToStripedOpiEvPT3_j
    .private_segment_fixed_size: 0
    .sgpr_count:     11
    .sgpr_spill_count: 0
    .symbol:         _Z20warp_exchange_kernelILj256ELj4ELj64E18ScatterToStripedOpiEvPT3_j.kd
    .uniform_work_group_size: 1
    .uses_dynamic_stack: false
    .vgpr_count:     8
    .vgpr_spill_count: 0
    .wavefront_size: 64
  - .agpr_count:     0
    .args:
      - .address_space:  global
        .offset:         0
        .size:           8
        .value_kind:     global_buffer
      - .offset:         8
        .size:           4
        .value_kind:     by_value
    .group_segment_fixed_size: 16384
    .kernarg_segment_align: 8
    .kernarg_segment_size: 12
    .language:       OpenCL C
    .language_version:
      - 2
      - 0
    .max_flat_workgroup_size: 256
    .name:           _Z20warp_exchange_kernelILj256ELj16ELj64E18ScatterToStripedOpiEvPT3_j
    .private_segment_fixed_size: 0
    .sgpr_count:     11
    .sgpr_spill_count: 0
    .symbol:         _Z20warp_exchange_kernelILj256ELj16ELj64E18ScatterToStripedOpiEvPT3_j.kd
    .uniform_work_group_size: 1
    .uses_dynamic_stack: false
    .vgpr_count:     35
    .vgpr_spill_count: 0
    .wavefront_size: 64
  - .agpr_count:     0
    .args:
      - .address_space:  global
        .offset:         0
        .size:           8
        .value_kind:     global_buffer
      - .offset:         8
        .size:           4
        .value_kind:     by_value
    .group_segment_fixed_size: 4096
    .kernarg_segment_align: 8
    .kernarg_segment_size: 12
    .language:       OpenCL C
    .language_version:
      - 2
      - 0
    .max_flat_workgroup_size: 256
    .name:           _Z20warp_exchange_kernelILj256ELj1ELj64EN6common18BlockedToStripedOpEnEvPT3_j
    .private_segment_fixed_size: 0
    .sgpr_count:     11
    .sgpr_spill_count: 0
    .symbol:         _Z20warp_exchange_kernelILj256ELj1ELj64EN6common18BlockedToStripedOpEnEvPT3_j.kd
    .uniform_work_group_size: 1
    .uses_dynamic_stack: false
    .vgpr_count:     7
    .vgpr_spill_count: 0
    .wavefront_size: 64
  - .agpr_count:     0
    .args:
      - .address_space:  global
        .offset:         0
        .size:           8
        .value_kind:     global_buffer
      - .offset:         8
        .size:           4
        .value_kind:     by_value
    .group_segment_fixed_size: 16384
    .kernarg_segment_align: 8
    .kernarg_segment_size: 12
    .language:       OpenCL C
    .language_version:
      - 2
      - 0
    .max_flat_workgroup_size: 256
    .name:           _Z20warp_exchange_kernelILj256ELj4ELj64EN6common18BlockedToStripedOpEnEvPT3_j
    .private_segment_fixed_size: 0
    .sgpr_count:     11
    .sgpr_spill_count: 0
    .symbol:         _Z20warp_exchange_kernelILj256ELj4ELj64EN6common18BlockedToStripedOpEnEvPT3_j.kd
    .uniform_work_group_size: 1
    .uses_dynamic_stack: false
    .vgpr_count:     20
    .vgpr_spill_count: 0
    .wavefront_size: 64
  - .agpr_count:     0
    .args:
      - .address_space:  global
        .offset:         0
        .size:           8
        .value_kind:     global_buffer
      - .offset:         8
        .size:           4
        .value_kind:     by_value
    .group_segment_fixed_size: 65536
    .kernarg_segment_align: 8
    .kernarg_segment_size: 12
    .language:       OpenCL C
    .language_version:
      - 2
      - 0
    .max_flat_workgroup_size: 256
    .name:           _Z20warp_exchange_kernelILj256ELj16ELj64EN6common18BlockedToStripedOpEnEvPT3_j
    .private_segment_fixed_size: 0
    .sgpr_count:     11
    .sgpr_spill_count: 0
    .symbol:         _Z20warp_exchange_kernelILj256ELj16ELj64EN6common18BlockedToStripedOpEnEvPT3_j.kd
    .uniform_work_group_size: 1
    .uses_dynamic_stack: false
    .vgpr_count:     68
    .vgpr_spill_count: 0
    .wavefront_size: 64
  - .agpr_count:     0
    .args:
      - .address_space:  global
        .offset:         0
        .size:           8
        .value_kind:     global_buffer
      - .offset:         8
        .size:           4
        .value_kind:     by_value
    .group_segment_fixed_size: 4096
    .kernarg_segment_align: 8
    .kernarg_segment_size: 12
    .language:       OpenCL C
    .language_version:
      - 2
      - 0
    .max_flat_workgroup_size: 256
    .name:           _Z20warp_exchange_kernelILj256ELj1ELj64EN6common18StripedToBlockedOpEnEvPT3_j
    .private_segment_fixed_size: 0
    .sgpr_count:     11
    .sgpr_spill_count: 0
    .symbol:         _Z20warp_exchange_kernelILj256ELj1ELj64EN6common18StripedToBlockedOpEnEvPT3_j.kd
    .uniform_work_group_size: 1
    .uses_dynamic_stack: false
    .vgpr_count:     7
    .vgpr_spill_count: 0
    .wavefront_size: 64
  - .agpr_count:     0
    .args:
      - .address_space:  global
        .offset:         0
        .size:           8
        .value_kind:     global_buffer
      - .offset:         8
        .size:           4
        .value_kind:     by_value
    .group_segment_fixed_size: 16384
    .kernarg_segment_align: 8
    .kernarg_segment_size: 12
    .language:       OpenCL C
    .language_version:
      - 2
      - 0
    .max_flat_workgroup_size: 256
    .name:           _Z20warp_exchange_kernelILj256ELj4ELj64EN6common18StripedToBlockedOpEnEvPT3_j
    .private_segment_fixed_size: 0
    .sgpr_count:     11
    .sgpr_spill_count: 0
    .symbol:         _Z20warp_exchange_kernelILj256ELj4ELj64EN6common18StripedToBlockedOpEnEvPT3_j.kd
    .uniform_work_group_size: 1
    .uses_dynamic_stack: false
    .vgpr_count:     20
    .vgpr_spill_count: 0
    .wavefront_size: 64
  - .agpr_count:     0
    .args:
      - .address_space:  global
        .offset:         0
        .size:           8
        .value_kind:     global_buffer
      - .offset:         8
        .size:           4
        .value_kind:     by_value
    .group_segment_fixed_size: 65536
    .kernarg_segment_align: 8
    .kernarg_segment_size: 12
    .language:       OpenCL C
    .language_version:
      - 2
      - 0
    .max_flat_workgroup_size: 256
    .name:           _Z20warp_exchange_kernelILj256ELj16ELj64EN6common18StripedToBlockedOpEnEvPT3_j
    .private_segment_fixed_size: 0
    .sgpr_count:     11
    .sgpr_spill_count: 0
    .symbol:         _Z20warp_exchange_kernelILj256ELj16ELj64EN6common18StripedToBlockedOpEnEvPT3_j.kd
    .uniform_work_group_size: 1
    .uses_dynamic_stack: false
    .vgpr_count:     68
    .vgpr_spill_count: 0
    .wavefront_size: 64
  - .agpr_count:     0
    .args:
      - .address_space:  global
        .offset:         0
        .size:           8
        .value_kind:     global_buffer
      - .offset:         8
        .size:           4
        .value_kind:     by_value
    .group_segment_fixed_size: 0
    .kernarg_segment_align: 8
    .kernarg_segment_size: 12
    .language:       OpenCL C
    .language_version:
      - 2
      - 0
    .max_flat_workgroup_size: 256
    .name:           _Z20warp_exchange_kernelILj256ELj1ELj64EN6common25BlockedToStripedShuffleOpEnEvPT3_j
    .private_segment_fixed_size: 0
    .sgpr_count:     11
    .sgpr_spill_count: 0
    .symbol:         _Z20warp_exchange_kernelILj256ELj1ELj64EN6common25BlockedToStripedShuffleOpEnEvPT3_j.kd
    .uniform_work_group_size: 1
    .uses_dynamic_stack: false
    .vgpr_count:     7
    .vgpr_spill_count: 0
    .wavefront_size: 64
  - .agpr_count:     0
    .args:
      - .address_space:  global
        .offset:         0
        .size:           8
        .value_kind:     global_buffer
      - .offset:         8
        .size:           4
        .value_kind:     by_value
    .group_segment_fixed_size: 0
    .kernarg_segment_align: 8
    .kernarg_segment_size: 12
    .language:       OpenCL C
    .language_version:
      - 2
      - 0
    .max_flat_workgroup_size: 256
    .name:           _Z20warp_exchange_kernelILj256ELj4ELj64EN6common25BlockedToStripedShuffleOpEnEvPT3_j
    .private_segment_fixed_size: 0
    .sgpr_count:     16
    .sgpr_spill_count: 0
    .symbol:         _Z20warp_exchange_kernelILj256ELj4ELj64EN6common25BlockedToStripedShuffleOpEnEvPT3_j.kd
    .uniform_work_group_size: 1
    .uses_dynamic_stack: false
    .vgpr_count:     37
    .vgpr_spill_count: 0
    .wavefront_size: 64
  - .agpr_count:     0
    .args:
      - .address_space:  global
        .offset:         0
        .size:           8
        .value_kind:     global_buffer
      - .offset:         8
        .size:           4
        .value_kind:     by_value
    .group_segment_fixed_size: 0
    .kernarg_segment_align: 8
    .kernarg_segment_size: 12
    .language:       OpenCL C
    .language_version:
      - 2
      - 0
    .max_flat_workgroup_size: 256
    .name:           _Z20warp_exchange_kernelILj256ELj16ELj64EN6common25BlockedToStripedShuffleOpEnEvPT3_j
    .private_segment_fixed_size: 528
    .sgpr_count:     14
    .sgpr_spill_count: 0
    .symbol:         _Z20warp_exchange_kernelILj256ELj16ELj64EN6common25BlockedToStripedShuffleOpEnEvPT3_j.kd
    .uniform_work_group_size: 1
    .uses_dynamic_stack: false
    .vgpr_count:     130
    .vgpr_spill_count: 0
    .wavefront_size: 64
  - .agpr_count:     0
    .args:
      - .address_space:  global
        .offset:         0
        .size:           8
        .value_kind:     global_buffer
      - .offset:         8
        .size:           4
        .value_kind:     by_value
    .group_segment_fixed_size: 0
    .kernarg_segment_align: 8
    .kernarg_segment_size: 12
    .language:       OpenCL C
    .language_version:
      - 2
      - 0
    .max_flat_workgroup_size: 256
    .name:           _Z20warp_exchange_kernelILj256ELj1ELj64EN6common25StripedToBlockedShuffleOpEnEvPT3_j
    .private_segment_fixed_size: 0
    .sgpr_count:     11
    .sgpr_spill_count: 0
    .symbol:         _Z20warp_exchange_kernelILj256ELj1ELj64EN6common25StripedToBlockedShuffleOpEnEvPT3_j.kd
    .uniform_work_group_size: 1
    .uses_dynamic_stack: false
    .vgpr_count:     7
    .vgpr_spill_count: 0
    .wavefront_size: 64
  - .agpr_count:     0
    .args:
      - .address_space:  global
        .offset:         0
        .size:           8
        .value_kind:     global_buffer
      - .offset:         8
        .size:           4
        .value_kind:     by_value
    .group_segment_fixed_size: 0
    .kernarg_segment_align: 8
    .kernarg_segment_size: 12
    .language:       OpenCL C
    .language_version:
      - 2
      - 0
    .max_flat_workgroup_size: 256
    .name:           _Z20warp_exchange_kernelILj256ELj4ELj64EN6common25StripedToBlockedShuffleOpEnEvPT3_j
    .private_segment_fixed_size: 0
    .sgpr_count:     16
    .sgpr_spill_count: 0
    .symbol:         _Z20warp_exchange_kernelILj256ELj4ELj64EN6common25StripedToBlockedShuffleOpEnEvPT3_j.kd
    .uniform_work_group_size: 1
    .uses_dynamic_stack: false
    .vgpr_count:     37
    .vgpr_spill_count: 0
    .wavefront_size: 64
  - .agpr_count:     0
    .args:
      - .address_space:  global
        .offset:         0
        .size:           8
        .value_kind:     global_buffer
      - .offset:         8
        .size:           4
        .value_kind:     by_value
    .group_segment_fixed_size: 0
    .kernarg_segment_align: 8
    .kernarg_segment_size: 12
    .language:       OpenCL C
    .language_version:
      - 2
      - 0
    .max_flat_workgroup_size: 256
    .name:           _Z20warp_exchange_kernelILj256ELj16ELj64EN6common25StripedToBlockedShuffleOpEnEvPT3_j
    .private_segment_fixed_size: 528
    .sgpr_count:     14
    .sgpr_spill_count: 0
    .symbol:         _Z20warp_exchange_kernelILj256ELj16ELj64EN6common25StripedToBlockedShuffleOpEnEvPT3_j.kd
    .uniform_work_group_size: 1
    .uses_dynamic_stack: false
    .vgpr_count:     132
    .vgpr_spill_count: 0
    .wavefront_size: 64
  - .agpr_count:     0
    .args:
      - .address_space:  global
        .offset:         0
        .size:           8
        .value_kind:     global_buffer
      - .offset:         8
        .size:           4
        .value_kind:     by_value
    .group_segment_fixed_size: 4096
    .kernarg_segment_align: 8
    .kernarg_segment_size: 12
    .language:       OpenCL C
    .language_version:
      - 2
      - 0
    .max_flat_workgroup_size: 256
    .name:           _Z20warp_exchange_kernelILj256ELj1ELj64E18ScatterToStripedOpnEvPT3_j
    .private_segment_fixed_size: 0
    .sgpr_count:     11
    .sgpr_spill_count: 0
    .symbol:         _Z20warp_exchange_kernelILj256ELj1ELj64E18ScatterToStripedOpnEvPT3_j.kd
    .uniform_work_group_size: 1
    .uses_dynamic_stack: false
    .vgpr_count:     8
    .vgpr_spill_count: 0
    .wavefront_size: 64
  - .agpr_count:     0
    .args:
      - .address_space:  global
        .offset:         0
        .size:           8
        .value_kind:     global_buffer
      - .offset:         8
        .size:           4
        .value_kind:     by_value
    .group_segment_fixed_size: 16384
    .kernarg_segment_align: 8
    .kernarg_segment_size: 12
    .language:       OpenCL C
    .language_version:
      - 2
      - 0
    .max_flat_workgroup_size: 256
    .name:           _Z20warp_exchange_kernelILj256ELj4ELj64E18ScatterToStripedOpnEvPT3_j
    .private_segment_fixed_size: 0
    .sgpr_count:     11
    .sgpr_spill_count: 0
    .symbol:         _Z20warp_exchange_kernelILj256ELj4ELj64E18ScatterToStripedOpnEvPT3_j.kd
    .uniform_work_group_size: 1
    .uses_dynamic_stack: false
    .vgpr_count:     21
    .vgpr_spill_count: 0
    .wavefront_size: 64
  - .agpr_count:     0
    .args:
      - .address_space:  global
        .offset:         0
        .size:           8
        .value_kind:     global_buffer
      - .offset:         8
        .size:           4
        .value_kind:     by_value
    .group_segment_fixed_size: 65536
    .kernarg_segment_align: 8
    .kernarg_segment_size: 12
    .language:       OpenCL C
    .language_version:
      - 2
      - 0
    .max_flat_workgroup_size: 256
    .name:           _Z20warp_exchange_kernelILj256ELj16ELj64E18ScatterToStripedOpnEvPT3_j
    .private_segment_fixed_size: 0
    .sgpr_count:     11
    .sgpr_spill_count: 0
    .symbol:         _Z20warp_exchange_kernelILj256ELj16ELj64E18ScatterToStripedOpnEvPT3_j.kd
    .uniform_work_group_size: 1
    .uses_dynamic_stack: false
    .vgpr_count:     69
    .vgpr_spill_count: 0
    .wavefront_size: 64
  - .agpr_count:     0
    .args:
      - .address_space:  global
        .offset:         0
        .size:           8
        .value_kind:     global_buffer
      - .offset:         8
        .size:           4
        .value_kind:     by_value
    .group_segment_fixed_size: 4096
    .kernarg_segment_align: 8
    .kernarg_segment_size: 12
    .language:       OpenCL C
    .language_version:
      - 2
      - 0
    .max_flat_workgroup_size: 256
    .name:           _Z20warp_exchange_kernelILj256ELj1ELj64EN6common18BlockedToStripedOpEoEvPT3_j
    .private_segment_fixed_size: 0
    .sgpr_count:     11
    .sgpr_spill_count: 0
    .symbol:         _Z20warp_exchange_kernelILj256ELj1ELj64EN6common18BlockedToStripedOpEoEvPT3_j.kd
    .uniform_work_group_size: 1
    .uses_dynamic_stack: false
    .vgpr_count:     7
    .vgpr_spill_count: 0
    .wavefront_size: 64
  - .agpr_count:     0
    .args:
      - .address_space:  global
        .offset:         0
        .size:           8
        .value_kind:     global_buffer
      - .offset:         8
        .size:           4
        .value_kind:     by_value
    .group_segment_fixed_size: 16384
    .kernarg_segment_align: 8
    .kernarg_segment_size: 12
    .language:       OpenCL C
    .language_version:
      - 2
      - 0
    .max_flat_workgroup_size: 256
    .name:           _Z20warp_exchange_kernelILj256ELj4ELj64EN6common18BlockedToStripedOpEoEvPT3_j
    .private_segment_fixed_size: 0
    .sgpr_count:     11
    .sgpr_spill_count: 0
    .symbol:         _Z20warp_exchange_kernelILj256ELj4ELj64EN6common18BlockedToStripedOpEoEvPT3_j.kd
    .uniform_work_group_size: 1
    .uses_dynamic_stack: false
    .vgpr_count:     20
    .vgpr_spill_count: 0
    .wavefront_size: 64
  - .agpr_count:     0
    .args:
      - .address_space:  global
        .offset:         0
        .size:           8
        .value_kind:     global_buffer
      - .offset:         8
        .size:           4
        .value_kind:     by_value
    .group_segment_fixed_size: 65536
    .kernarg_segment_align: 8
    .kernarg_segment_size: 12
    .language:       OpenCL C
    .language_version:
      - 2
      - 0
    .max_flat_workgroup_size: 256
    .name:           _Z20warp_exchange_kernelILj256ELj16ELj64EN6common18BlockedToStripedOpEoEvPT3_j
    .private_segment_fixed_size: 0
    .sgpr_count:     11
    .sgpr_spill_count: 0
    .symbol:         _Z20warp_exchange_kernelILj256ELj16ELj64EN6common18BlockedToStripedOpEoEvPT3_j.kd
    .uniform_work_group_size: 1
    .uses_dynamic_stack: false
    .vgpr_count:     68
    .vgpr_spill_count: 0
    .wavefront_size: 64
  - .agpr_count:     0
    .args:
      - .address_space:  global
        .offset:         0
        .size:           8
        .value_kind:     global_buffer
      - .offset:         8
        .size:           4
        .value_kind:     by_value
    .group_segment_fixed_size: 4096
    .kernarg_segment_align: 8
    .kernarg_segment_size: 12
    .language:       OpenCL C
    .language_version:
      - 2
      - 0
    .max_flat_workgroup_size: 256
    .name:           _Z20warp_exchange_kernelILj256ELj1ELj64EN6common18StripedToBlockedOpEoEvPT3_j
    .private_segment_fixed_size: 0
    .sgpr_count:     11
    .sgpr_spill_count: 0
    .symbol:         _Z20warp_exchange_kernelILj256ELj1ELj64EN6common18StripedToBlockedOpEoEvPT3_j.kd
    .uniform_work_group_size: 1
    .uses_dynamic_stack: false
    .vgpr_count:     7
    .vgpr_spill_count: 0
    .wavefront_size: 64
  - .agpr_count:     0
    .args:
      - .address_space:  global
        .offset:         0
        .size:           8
        .value_kind:     global_buffer
      - .offset:         8
        .size:           4
        .value_kind:     by_value
    .group_segment_fixed_size: 16384
    .kernarg_segment_align: 8
    .kernarg_segment_size: 12
    .language:       OpenCL C
    .language_version:
      - 2
      - 0
    .max_flat_workgroup_size: 256
    .name:           _Z20warp_exchange_kernelILj256ELj4ELj64EN6common18StripedToBlockedOpEoEvPT3_j
    .private_segment_fixed_size: 0
    .sgpr_count:     11
    .sgpr_spill_count: 0
    .symbol:         _Z20warp_exchange_kernelILj256ELj4ELj64EN6common18StripedToBlockedOpEoEvPT3_j.kd
    .uniform_work_group_size: 1
    .uses_dynamic_stack: false
    .vgpr_count:     20
    .vgpr_spill_count: 0
    .wavefront_size: 64
  - .agpr_count:     0
    .args:
      - .address_space:  global
        .offset:         0
        .size:           8
        .value_kind:     global_buffer
      - .offset:         8
        .size:           4
        .value_kind:     by_value
    .group_segment_fixed_size: 65536
    .kernarg_segment_align: 8
    .kernarg_segment_size: 12
    .language:       OpenCL C
    .language_version:
      - 2
      - 0
    .max_flat_workgroup_size: 256
    .name:           _Z20warp_exchange_kernelILj256ELj16ELj64EN6common18StripedToBlockedOpEoEvPT3_j
    .private_segment_fixed_size: 0
    .sgpr_count:     11
    .sgpr_spill_count: 0
    .symbol:         _Z20warp_exchange_kernelILj256ELj16ELj64EN6common18StripedToBlockedOpEoEvPT3_j.kd
    .uniform_work_group_size: 1
    .uses_dynamic_stack: false
    .vgpr_count:     68
    .vgpr_spill_count: 0
    .wavefront_size: 64
  - .agpr_count:     0
    .args:
      - .address_space:  global
        .offset:         0
        .size:           8
        .value_kind:     global_buffer
      - .offset:         8
        .size:           4
        .value_kind:     by_value
    .group_segment_fixed_size: 0
    .kernarg_segment_align: 8
    .kernarg_segment_size: 12
    .language:       OpenCL C
    .language_version:
      - 2
      - 0
    .max_flat_workgroup_size: 256
    .name:           _Z20warp_exchange_kernelILj256ELj1ELj64EN6common25BlockedToStripedShuffleOpEoEvPT3_j
    .private_segment_fixed_size: 0
    .sgpr_count:     11
    .sgpr_spill_count: 0
    .symbol:         _Z20warp_exchange_kernelILj256ELj1ELj64EN6common25BlockedToStripedShuffleOpEoEvPT3_j.kd
    .uniform_work_group_size: 1
    .uses_dynamic_stack: false
    .vgpr_count:     7
    .vgpr_spill_count: 0
    .wavefront_size: 64
  - .agpr_count:     0
    .args:
      - .address_space:  global
        .offset:         0
        .size:           8
        .value_kind:     global_buffer
      - .offset:         8
        .size:           4
        .value_kind:     by_value
    .group_segment_fixed_size: 0
    .kernarg_segment_align: 8
    .kernarg_segment_size: 12
    .language:       OpenCL C
    .language_version:
      - 2
      - 0
    .max_flat_workgroup_size: 256
    .name:           _Z20warp_exchange_kernelILj256ELj4ELj64EN6common25BlockedToStripedShuffleOpEoEvPT3_j
    .private_segment_fixed_size: 0
    .sgpr_count:     16
    .sgpr_spill_count: 0
    .symbol:         _Z20warp_exchange_kernelILj256ELj4ELj64EN6common25BlockedToStripedShuffleOpEoEvPT3_j.kd
    .uniform_work_group_size: 1
    .uses_dynamic_stack: false
    .vgpr_count:     37
    .vgpr_spill_count: 0
    .wavefront_size: 64
  - .agpr_count:     0
    .args:
      - .address_space:  global
        .offset:         0
        .size:           8
        .value_kind:     global_buffer
      - .offset:         8
        .size:           4
        .value_kind:     by_value
    .group_segment_fixed_size: 0
    .kernarg_segment_align: 8
    .kernarg_segment_size: 12
    .language:       OpenCL C
    .language_version:
      - 2
      - 0
    .max_flat_workgroup_size: 256
    .name:           _Z20warp_exchange_kernelILj256ELj16ELj64EN6common25BlockedToStripedShuffleOpEoEvPT3_j
    .private_segment_fixed_size: 528
    .sgpr_count:     14
    .sgpr_spill_count: 0
    .symbol:         _Z20warp_exchange_kernelILj256ELj16ELj64EN6common25BlockedToStripedShuffleOpEoEvPT3_j.kd
    .uniform_work_group_size: 1
    .uses_dynamic_stack: false
    .vgpr_count:     130
    .vgpr_spill_count: 0
    .wavefront_size: 64
  - .agpr_count:     0
    .args:
      - .address_space:  global
        .offset:         0
        .size:           8
        .value_kind:     global_buffer
      - .offset:         8
        .size:           4
        .value_kind:     by_value
    .group_segment_fixed_size: 0
    .kernarg_segment_align: 8
    .kernarg_segment_size: 12
    .language:       OpenCL C
    .language_version:
      - 2
      - 0
    .max_flat_workgroup_size: 256
    .name:           _Z20warp_exchange_kernelILj256ELj1ELj64EN6common25StripedToBlockedShuffleOpEoEvPT3_j
    .private_segment_fixed_size: 0
    .sgpr_count:     11
    .sgpr_spill_count: 0
    .symbol:         _Z20warp_exchange_kernelILj256ELj1ELj64EN6common25StripedToBlockedShuffleOpEoEvPT3_j.kd
    .uniform_work_group_size: 1
    .uses_dynamic_stack: false
    .vgpr_count:     7
    .vgpr_spill_count: 0
    .wavefront_size: 64
  - .agpr_count:     0
    .args:
      - .address_space:  global
        .offset:         0
        .size:           8
        .value_kind:     global_buffer
      - .offset:         8
        .size:           4
        .value_kind:     by_value
    .group_segment_fixed_size: 0
    .kernarg_segment_align: 8
    .kernarg_segment_size: 12
    .language:       OpenCL C
    .language_version:
      - 2
      - 0
    .max_flat_workgroup_size: 256
    .name:           _Z20warp_exchange_kernelILj256ELj4ELj64EN6common25StripedToBlockedShuffleOpEoEvPT3_j
    .private_segment_fixed_size: 0
    .sgpr_count:     16
    .sgpr_spill_count: 0
    .symbol:         _Z20warp_exchange_kernelILj256ELj4ELj64EN6common25StripedToBlockedShuffleOpEoEvPT3_j.kd
    .uniform_work_group_size: 1
    .uses_dynamic_stack: false
    .vgpr_count:     37
    .vgpr_spill_count: 0
    .wavefront_size: 64
  - .agpr_count:     0
    .args:
      - .address_space:  global
        .offset:         0
        .size:           8
        .value_kind:     global_buffer
      - .offset:         8
        .size:           4
        .value_kind:     by_value
    .group_segment_fixed_size: 0
    .kernarg_segment_align: 8
    .kernarg_segment_size: 12
    .language:       OpenCL C
    .language_version:
      - 2
      - 0
    .max_flat_workgroup_size: 256
    .name:           _Z20warp_exchange_kernelILj256ELj16ELj64EN6common25StripedToBlockedShuffleOpEoEvPT3_j
    .private_segment_fixed_size: 528
    .sgpr_count:     14
    .sgpr_spill_count: 0
    .symbol:         _Z20warp_exchange_kernelILj256ELj16ELj64EN6common25StripedToBlockedShuffleOpEoEvPT3_j.kd
    .uniform_work_group_size: 1
    .uses_dynamic_stack: false
    .vgpr_count:     132
    .vgpr_spill_count: 0
    .wavefront_size: 64
  - .agpr_count:     0
    .args:
      - .address_space:  global
        .offset:         0
        .size:           8
        .value_kind:     global_buffer
      - .offset:         8
        .size:           4
        .value_kind:     by_value
    .group_segment_fixed_size: 4096
    .kernarg_segment_align: 8
    .kernarg_segment_size: 12
    .language:       OpenCL C
    .language_version:
      - 2
      - 0
    .max_flat_workgroup_size: 256
    .name:           _Z20warp_exchange_kernelILj256ELj1ELj64E18ScatterToStripedOpoEvPT3_j
    .private_segment_fixed_size: 0
    .sgpr_count:     11
    .sgpr_spill_count: 0
    .symbol:         _Z20warp_exchange_kernelILj256ELj1ELj64E18ScatterToStripedOpoEvPT3_j.kd
    .uniform_work_group_size: 1
    .uses_dynamic_stack: false
    .vgpr_count:     8
    .vgpr_spill_count: 0
    .wavefront_size: 64
  - .agpr_count:     0
    .args:
      - .address_space:  global
        .offset:         0
        .size:           8
        .value_kind:     global_buffer
      - .offset:         8
        .size:           4
        .value_kind:     by_value
    .group_segment_fixed_size: 16384
    .kernarg_segment_align: 8
    .kernarg_segment_size: 12
    .language:       OpenCL C
    .language_version:
      - 2
      - 0
    .max_flat_workgroup_size: 256
    .name:           _Z20warp_exchange_kernelILj256ELj4ELj64E18ScatterToStripedOpoEvPT3_j
    .private_segment_fixed_size: 0
    .sgpr_count:     11
    .sgpr_spill_count: 0
    .symbol:         _Z20warp_exchange_kernelILj256ELj4ELj64E18ScatterToStripedOpoEvPT3_j.kd
    .uniform_work_group_size: 1
    .uses_dynamic_stack: false
    .vgpr_count:     21
    .vgpr_spill_count: 0
    .wavefront_size: 64
  - .agpr_count:     0
    .args:
      - .address_space:  global
        .offset:         0
        .size:           8
        .value_kind:     global_buffer
      - .offset:         8
        .size:           4
        .value_kind:     by_value
    .group_segment_fixed_size: 65536
    .kernarg_segment_align: 8
    .kernarg_segment_size: 12
    .language:       OpenCL C
    .language_version:
      - 2
      - 0
    .max_flat_workgroup_size: 256
    .name:           _Z20warp_exchange_kernelILj256ELj16ELj64E18ScatterToStripedOpoEvPT3_j
    .private_segment_fixed_size: 0
    .sgpr_count:     11
    .sgpr_spill_count: 0
    .symbol:         _Z20warp_exchange_kernelILj256ELj16ELj64E18ScatterToStripedOpoEvPT3_j.kd
    .uniform_work_group_size: 1
    .uses_dynamic_stack: false
    .vgpr_count:     69
    .vgpr_spill_count: 0
    .wavefront_size: 64
amdhsa.target:   amdgcn-amd-amdhsa--gfx90a
amdhsa.version:
  - 1
  - 2
...

	.end_amdgpu_metadata
